;; amdgpu-corpus repo=ROCm/rocFFT kind=compiled arch=gfx950 opt=O3
	.text
	.amdgcn_target "amdgcn-amd-amdhsa--gfx950"
	.amdhsa_code_object_version 6
	.protected	fft_rtc_back_len1001_factors_13_7_11_wgs_182_tpt_91_halfLds_sp_ip_CI_sbrr_dirReg ; -- Begin function fft_rtc_back_len1001_factors_13_7_11_wgs_182_tpt_91_halfLds_sp_ip_CI_sbrr_dirReg
	.globl	fft_rtc_back_len1001_factors_13_7_11_wgs_182_tpt_91_halfLds_sp_ip_CI_sbrr_dirReg
	.p2align	8
	.type	fft_rtc_back_len1001_factors_13_7_11_wgs_182_tpt_91_halfLds_sp_ip_CI_sbrr_dirReg,@function
fft_rtc_back_len1001_factors_13_7_11_wgs_182_tpt_91_halfLds_sp_ip_CI_sbrr_dirReg: ; @fft_rtc_back_len1001_factors_13_7_11_wgs_182_tpt_91_halfLds_sp_ip_CI_sbrr_dirReg
; %bb.0:
	s_load_dwordx2 s[12:13], s[0:1], 0x18
	s_load_dwordx4 s[4:7], s[0:1], 0x0
	s_load_dwordx2 s[10:11], s[0:1], 0x50
	v_mul_u32_u24_e32 v1, 0x2d1, v0
	v_lshrrev_b32_e32 v61, 16, v1
	s_waitcnt lgkmcnt(0)
	s_load_dwordx2 s[8:9], s[12:13], 0x0
	v_lshl_add_u32 v6, s2, 1, v61
	v_mov_b32_e32 v4, 0
	v_cmp_lt_u64_e64 s[2:3], s[6:7], 2
	v_mov_b32_e32 v7, v4
	s_and_b64 vcc, exec, s[2:3]
	v_mov_b64_e32 v[2:3], 0
	s_cbranch_vccnz .LBB0_8
; %bb.1:
	s_load_dwordx2 s[2:3], s[0:1], 0x10
	s_add_u32 s14, s12, 8
	s_addc_u32 s15, s13, 0
	s_mov_b64 s[16:17], 1
	v_mov_b64_e32 v[2:3], 0
	s_waitcnt lgkmcnt(0)
	s_add_u32 s18, s2, 8
	s_addc_u32 s19, s3, 0
.LBB0_2:                                ; =>This Inner Loop Header: Depth=1
	s_load_dwordx2 s[20:21], s[18:19], 0x0
                                        ; implicit-def: $vgpr8_vgpr9
	s_waitcnt lgkmcnt(0)
	v_or_b32_e32 v5, s21, v7
	v_cmp_ne_u64_e32 vcc, 0, v[4:5]
	s_and_saveexec_b64 s[2:3], vcc
	s_xor_b64 s[22:23], exec, s[2:3]
	s_cbranch_execz .LBB0_4
; %bb.3:                                ;   in Loop: Header=BB0_2 Depth=1
	v_cvt_f32_u32_e32 v1, s20
	v_cvt_f32_u32_e32 v5, s21
	s_sub_u32 s2, 0, s20
	s_subb_u32 s3, 0, s21
	v_fmac_f32_e32 v1, 0x4f800000, v5
	v_rcp_f32_e32 v1, v1
	s_nop 0
	v_mul_f32_e32 v1, 0x5f7ffffc, v1
	v_mul_f32_e32 v5, 0x2f800000, v1
	v_trunc_f32_e32 v5, v5
	v_fmac_f32_e32 v1, 0xcf800000, v5
	v_cvt_u32_f32_e32 v5, v5
	v_cvt_u32_f32_e32 v1, v1
	v_mul_lo_u32 v8, s2, v5
	v_mul_hi_u32 v10, s2, v1
	v_mul_lo_u32 v9, s3, v1
	v_add_u32_e32 v10, v10, v8
	v_mul_lo_u32 v12, s2, v1
	v_add_u32_e32 v13, v10, v9
	v_mul_hi_u32 v8, v1, v12
	v_mul_hi_u32 v11, v1, v13
	v_mul_lo_u32 v10, v1, v13
	v_mov_b32_e32 v9, v4
	v_lshl_add_u64 v[8:9], v[8:9], 0, v[10:11]
	v_mul_hi_u32 v11, v5, v12
	v_mul_lo_u32 v12, v5, v12
	v_add_co_u32_e32 v8, vcc, v8, v12
	v_mul_hi_u32 v10, v5, v13
	s_nop 0
	v_addc_co_u32_e32 v8, vcc, v9, v11, vcc
	v_mov_b32_e32 v9, v4
	s_nop 0
	v_addc_co_u32_e32 v11, vcc, 0, v10, vcc
	v_mul_lo_u32 v10, v5, v13
	v_lshl_add_u64 v[8:9], v[8:9], 0, v[10:11]
	v_add_co_u32_e32 v1, vcc, v1, v8
	v_mul_lo_u32 v10, s2, v1
	s_nop 0
	v_addc_co_u32_e32 v5, vcc, v5, v9, vcc
	v_mul_lo_u32 v8, s2, v5
	v_mul_hi_u32 v9, s2, v1
	v_add_u32_e32 v8, v9, v8
	v_mul_lo_u32 v9, s3, v1
	v_add_u32_e32 v12, v8, v9
	v_mul_hi_u32 v14, v5, v10
	v_mul_lo_u32 v15, v5, v10
	v_mul_hi_u32 v9, v1, v12
	v_mul_lo_u32 v8, v1, v12
	v_mul_hi_u32 v10, v1, v10
	v_mov_b32_e32 v11, v4
	v_lshl_add_u64 v[8:9], v[10:11], 0, v[8:9]
	v_add_co_u32_e32 v8, vcc, v8, v15
	v_mul_hi_u32 v13, v5, v12
	s_nop 0
	v_addc_co_u32_e32 v8, vcc, v9, v14, vcc
	v_mul_lo_u32 v10, v5, v12
	s_nop 0
	v_addc_co_u32_e32 v11, vcc, 0, v13, vcc
	v_mov_b32_e32 v9, v4
	v_lshl_add_u64 v[8:9], v[8:9], 0, v[10:11]
	v_add_co_u32_e32 v1, vcc, v1, v8
	v_mul_hi_u32 v10, v6, v1
	s_nop 0
	v_addc_co_u32_e32 v5, vcc, v5, v9, vcc
	v_mad_u64_u32 v[8:9], s[2:3], v6, v5, 0
	v_mov_b32_e32 v11, v4
	v_lshl_add_u64 v[8:9], v[10:11], 0, v[8:9]
	v_mad_u64_u32 v[12:13], s[2:3], v7, v1, 0
	v_add_co_u32_e32 v1, vcc, v8, v12
	v_mad_u64_u32 v[10:11], s[2:3], v7, v5, 0
	s_nop 0
	v_addc_co_u32_e32 v8, vcc, v9, v13, vcc
	v_mov_b32_e32 v9, v4
	s_nop 0
	v_addc_co_u32_e32 v11, vcc, 0, v11, vcc
	v_lshl_add_u64 v[8:9], v[8:9], 0, v[10:11]
	v_mul_lo_u32 v1, s21, v8
	v_mul_lo_u32 v5, s20, v9
	v_mad_u64_u32 v[10:11], s[2:3], s20, v8, 0
	v_add3_u32 v1, v11, v5, v1
	v_sub_u32_e32 v5, v7, v1
	v_mov_b32_e32 v11, s21
	v_sub_co_u32_e32 v14, vcc, v6, v10
	v_lshl_add_u64 v[12:13], v[8:9], 0, 1
	s_nop 0
	v_subb_co_u32_e64 v5, s[2:3], v5, v11, vcc
	v_subrev_co_u32_e64 v10, s[2:3], s20, v14
	v_subb_co_u32_e32 v1, vcc, v7, v1, vcc
	s_nop 0
	v_subbrev_co_u32_e64 v5, s[2:3], 0, v5, s[2:3]
	v_cmp_le_u32_e64 s[2:3], s21, v5
	v_cmp_le_u32_e32 vcc, s21, v1
	s_nop 0
	v_cndmask_b32_e64 v11, 0, -1, s[2:3]
	v_cmp_le_u32_e64 s[2:3], s20, v10
	s_nop 1
	v_cndmask_b32_e64 v10, 0, -1, s[2:3]
	v_cmp_eq_u32_e64 s[2:3], s21, v5
	s_nop 1
	v_cndmask_b32_e64 v5, v11, v10, s[2:3]
	v_lshl_add_u64 v[10:11], v[8:9], 0, 2
	v_cmp_ne_u32_e64 s[2:3], 0, v5
	s_nop 1
	v_cndmask_b32_e64 v5, v13, v11, s[2:3]
	v_cndmask_b32_e64 v11, 0, -1, vcc
	v_cmp_le_u32_e32 vcc, s20, v14
	s_nop 1
	v_cndmask_b32_e64 v13, 0, -1, vcc
	v_cmp_eq_u32_e32 vcc, s21, v1
	s_nop 1
	v_cndmask_b32_e32 v1, v11, v13, vcc
	v_cmp_ne_u32_e32 vcc, 0, v1
	v_cndmask_b32_e64 v1, v12, v10, s[2:3]
	s_nop 0
	v_cndmask_b32_e32 v9, v9, v5, vcc
	v_cndmask_b32_e32 v8, v8, v1, vcc
.LBB0_4:                                ;   in Loop: Header=BB0_2 Depth=1
	s_andn2_saveexec_b64 s[2:3], s[22:23]
	s_cbranch_execz .LBB0_6
; %bb.5:                                ;   in Loop: Header=BB0_2 Depth=1
	v_cvt_f32_u32_e32 v1, s20
	s_sub_i32 s22, 0, s20
	v_rcp_iflag_f32_e32 v1, v1
	s_nop 0
	v_mul_f32_e32 v1, 0x4f7ffffe, v1
	v_cvt_u32_f32_e32 v1, v1
	v_mul_lo_u32 v5, s22, v1
	v_mul_hi_u32 v5, v1, v5
	v_add_u32_e32 v1, v1, v5
	v_mul_hi_u32 v1, v6, v1
	v_mul_lo_u32 v5, v1, s20
	v_sub_u32_e32 v5, v6, v5
	v_add_u32_e32 v8, 1, v1
	v_subrev_u32_e32 v9, s20, v5
	v_cmp_le_u32_e32 vcc, s20, v5
	s_nop 1
	v_cndmask_b32_e32 v5, v5, v9, vcc
	v_cndmask_b32_e32 v1, v1, v8, vcc
	v_add_u32_e32 v8, 1, v1
	v_cmp_le_u32_e32 vcc, s20, v5
	v_mov_b32_e32 v9, v4
	s_nop 0
	v_cndmask_b32_e32 v8, v1, v8, vcc
.LBB0_6:                                ;   in Loop: Header=BB0_2 Depth=1
	s_or_b64 exec, exec, s[2:3]
	v_mad_u64_u32 v[10:11], s[2:3], v8, s20, 0
	s_load_dwordx2 s[2:3], s[14:15], 0x0
	v_mul_lo_u32 v1, v9, s20
	v_mul_lo_u32 v5, v8, s21
	v_add3_u32 v1, v11, v5, v1
	v_sub_co_u32_e32 v5, vcc, v6, v10
	s_add_u32 s16, s16, 1
	s_nop 0
	v_subb_co_u32_e32 v1, vcc, v7, v1, vcc
	s_addc_u32 s17, s17, 0
	s_waitcnt lgkmcnt(0)
	v_mul_lo_u32 v1, s2, v1
	v_mul_lo_u32 v6, s3, v5
	v_mad_u64_u32 v[2:3], s[2:3], s2, v5, v[2:3]
	s_add_u32 s14, s14, 8
	v_add3_u32 v3, v6, v3, v1
	s_addc_u32 s15, s15, 0
	v_mov_b64_e32 v[6:7], s[6:7]
	s_add_u32 s18, s18, 8
	v_cmp_ge_u64_e32 vcc, s[16:17], v[6:7]
	s_addc_u32 s19, s19, 0
	s_cbranch_vccnz .LBB0_9
; %bb.7:                                ;   in Loop: Header=BB0_2 Depth=1
	v_mov_b64_e32 v[6:7], v[8:9]
	s_branch .LBB0_2
.LBB0_8:
	v_mov_b64_e32 v[8:9], v[6:7]
.LBB0_9:
	s_lshl_b64 s[2:3], s[6:7], 3
	s_add_u32 s2, s12, s2
	s_addc_u32 s3, s13, s3
	s_load_dwordx2 s[6:7], s[2:3], 0x0
	s_load_dwordx2 s[12:13], s[0:1], 0x20
	v_mov_b32_e32 v96, 0
	v_mov_b32_e32 v33, 0
                                        ; implicit-def: $vgpr6
                                        ; implicit-def: $vgpr12
                                        ; implicit-def: $vgpr14
                                        ; implicit-def: $vgpr16
                                        ; implicit-def: $vgpr26
                                        ; implicit-def: $vgpr24
                                        ; implicit-def: $vgpr20
                                        ; implicit-def: $vgpr28
                                        ; implicit-def: $vgpr22
	s_waitcnt lgkmcnt(0)
	v_mad_u64_u32 v[2:3], s[0:1], s6, v8, v[2:3]
	v_mul_lo_u32 v1, s6, v9
	v_mul_lo_u32 v4, s7, v8
	s_mov_b32 s0, 0x2d02d03
	v_add3_u32 v3, v4, v3, v1
	v_mul_hi_u32 v1, v0, s0
	v_mul_u32_u24_e32 v1, 0x5b, v1
	v_cmp_gt_u64_e32 vcc, s[12:13], v[8:9]
	v_sub_u32_e32 v97, v0, v1
	v_mov_b32_e32 v1, 0
                                        ; implicit-def: $vgpr4
                                        ; implicit-def: $vgpr8
	s_and_saveexec_b64 s[2:3], vcc
	s_cbranch_execz .LBB0_13
; %bb.10:
	s_movk_i32 s0, 0x4d
	v_cmp_gt_u32_e64 s[0:1], s0, v97
	v_mov_b32_e32 v33, 0
	v_mov_b32_e32 v1, 0
                                        ; implicit-def: $vgpr23
                                        ; implicit-def: $vgpr29
                                        ; implicit-def: $vgpr21
                                        ; implicit-def: $vgpr25
                                        ; implicit-def: $vgpr27
                                        ; implicit-def: $vgpr17
                                        ; implicit-def: $vgpr15
                                        ; implicit-def: $vgpr13
                                        ; implicit-def: $vgpr9
                                        ; implicit-def: $vgpr7
                                        ; implicit-def: $vgpr5
	s_and_saveexec_b64 s[6:7], s[0:1]
	s_cbranch_execz .LBB0_12
; %bb.11:
	v_mad_u64_u32 v[0:1], s[0:1], s8, v97, 0
	v_mov_b32_e32 v4, v1
	v_mad_u64_u32 v[4:5], s[0:1], s9, v97, v[4:5]
	v_mov_b32_e32 v1, v4
	v_lshl_add_u64 v[10:11], v[2:3], 3, s[10:11]
	v_add_u32_e32 v5, 0x4d, v97
	v_lshl_add_u64 v[12:13], v[0:1], 3, v[10:11]
	v_mad_u64_u32 v[0:1], s[0:1], s8, v5, 0
	v_mov_b32_e32 v4, v1
	v_mad_u64_u32 v[4:5], s[0:1], s9, v5, v[4:5]
	v_mov_b32_e32 v1, v4
	v_add_u32_e32 v5, 0x9a, v97
	v_lshl_add_u64 v[14:15], v[0:1], 3, v[10:11]
	v_mad_u64_u32 v[0:1], s[0:1], s8, v5, 0
	v_mov_b32_e32 v4, v1
	v_mad_u64_u32 v[4:5], s[0:1], s9, v5, v[4:5]
	v_mov_b32_e32 v1, v4
	;; [unrolled: 6-line block ×3, first 2 shown]
	v_lshl_add_u64 v[18:19], v[0:1], 3, v[10:11]
	global_load_dwordx2 v[0:1], v[12:13], off
	global_load_dwordx2 v[4:5], v[14:15], off
	;; [unrolled: 1-line block ×4, first 2 shown]
	v_add_u32_e32 v15, 0x134, v97
	v_mad_u64_u32 v[12:13], s[0:1], s8, v15, 0
	v_mov_b32_e32 v14, v13
	v_mad_u64_u32 v[14:15], s[0:1], s9, v15, v[14:15]
	v_mov_b32_e32 v13, v14
	v_add_u32_e32 v15, 0x181, v97
	v_lshl_add_u64 v[18:19], v[12:13], 3, v[10:11]
	v_mad_u64_u32 v[12:13], s[0:1], s8, v15, 0
	v_mov_b32_e32 v14, v13
	v_mad_u64_u32 v[14:15], s[0:1], s9, v15, v[14:15]
	v_mov_b32_e32 v13, v14
	v_add_u32_e32 v15, 0x1ce, v97
	v_lshl_add_u64 v[20:21], v[12:13], 3, v[10:11]
	;; [unrolled: 6-line block ×3, first 2 shown]
	v_mad_u64_u32 v[12:13], s[0:1], s8, v15, 0
	v_mov_b32_e32 v14, v13
	v_mad_u64_u32 v[14:15], s[0:1], s9, v15, v[14:15]
	v_mov_b32_e32 v13, v14
	v_lshl_add_u64 v[24:25], v[12:13], 3, v[10:11]
	global_load_dwordx2 v[12:13], v[18:19], off
	global_load_dwordx2 v[14:15], v[20:21], off
	;; [unrolled: 1-line block ×4, first 2 shown]
	v_add_u32_e32 v21, 0x268, v97
	v_mad_u64_u32 v[18:19], s[0:1], s8, v21, 0
	v_mov_b32_e32 v20, v19
	v_mad_u64_u32 v[20:21], s[0:1], s9, v21, v[20:21]
	v_add_u32_e32 v23, 0x2b5, v97
	v_mov_b32_e32 v19, v20
	v_mad_u64_u32 v[20:21], s[0:1], s8, v23, 0
	v_mov_b32_e32 v22, v21
	v_mad_u64_u32 v[22:23], s[0:1], s9, v23, v[22:23]
	v_mov_b32_e32 v21, v22
	v_add_u32_e32 v23, 0x302, v97
	v_lshl_add_u64 v[28:29], v[20:21], 3, v[10:11]
	v_mad_u64_u32 v[20:21], s[0:1], s8, v23, 0
	v_mov_b32_e32 v22, v21
	v_mad_u64_u32 v[22:23], s[0:1], s9, v23, v[22:23]
	v_mov_b32_e32 v21, v22
	v_add_u32_e32 v23, 0x34f, v97
	v_lshl_add_u64 v[32:33], v[20:21], 3, v[10:11]
	v_mad_u64_u32 v[20:21], s[0:1], s8, v23, 0
	v_mov_b32_e32 v22, v21
	v_mad_u64_u32 v[22:23], s[0:1], s9, v23, v[22:23]
	v_lshl_add_u64 v[18:19], v[18:19], 3, v[10:11]
	v_mov_b32_e32 v21, v22
	v_lshl_add_u64 v[34:35], v[20:21], 3, v[10:11]
	global_load_dwordx2 v[26:27], v[18:19], off
	global_load_dwordx2 v[24:25], v[28:29], off
	;; [unrolled: 1-line block ×4, first 2 shown]
	v_add_u32_e32 v29, 0x39c, v97
	v_mad_u64_u32 v[18:19], s[0:1], s8, v29, 0
	v_mov_b32_e32 v28, v19
	v_mad_u64_u32 v[28:29], s[0:1], s9, v29, v[28:29]
	v_mov_b32_e32 v19, v28
	v_lshl_add_u64 v[10:11], v[18:19], 3, v[10:11]
	global_load_dwordx2 v[28:29], v[10:11], off
	s_waitcnt vmcnt(12)
	v_mov_b32_e32 v33, v0
	s_waitcnt vmcnt(5)
	v_mov_b32_e32 v32, v30
	v_mov_b32_e32 v0, v31
.LBB0_12:
	s_or_b64 exec, exec, s[6:7]
	v_mov_b32_e32 v96, v97
.LBB0_13:
	s_or_b64 exec, exec, s[2:3]
	s_mov_b32 s14, 0xbeedf032
	s_waitcnt vmcnt(0)
	v_pk_add_f32 v[50:51], v[4:5], v[28:29] neg_lo:[0,1] neg_hi:[0,1]
	s_mov_b32 s6, 0x3f62ad3f
	s_mov_b32 s15, 0xbf7e222b
	;; [unrolled: 1-line block ×3, first 2 shown]
	v_pk_add_f32 v[34:35], v[4:5], v[28:29]
	v_pk_add_f32 v[48:49], v[6:7], v[20:21] neg_lo:[0,1] neg_hi:[0,1]
	s_mov_b32 s7, 0x3df6dbef
	v_pk_mul_f32 v[68:69], v[50:51], s[14:15] op_sel:[1,0]
	s_mov_b32 s19, 0xbe750f2a
	v_pk_add_f32 v[36:37], v[6:7], v[20:21]
	v_pk_add_f32 v[46:47], v[8:9], v[22:23] neg_lo:[0,1] neg_hi:[0,1]
	v_pk_fma_f32 v[10:11], v[34:35], s[6:7], v[68:69] op_sel_hi:[0,1,1] neg_lo:[0,0,1] neg_hi:[0,0,1]
	v_mov_b32_e32 v86, v33
	s_mov_b32 s13, 0xbf788fa5
	s_mov_b32 s12, 0x3f116cb1
	v_pk_mul_f32 v[70:71], v[48:49], s[18:19] op_sel:[1,0]
	s_mov_b32 s1, 0x3f6f5d39
	s_mov_b32 s0, s15
	;; [unrolled: 1-line block ×3, first 2 shown]
	v_pk_add_f32 v[38:39], v[8:9], v[22:23]
	v_pk_add_f32 v[44:45], v[12:13], v[24:25] neg_lo:[0,1] neg_hi:[0,1]
	v_pk_add_f32 v[10:11], v[86:87], v[10:11] op_sel_hi:[0,1]
	v_pk_fma_f32 v[18:19], v[36:37], s[12:13], v[70:71] op_sel_hi:[0,1,1] neg_lo:[0,0,1] neg_hi:[0,0,1]
	s_mov_b32 s17, 0xbeb58ec6
	s_mov_b32 s16, s7
	v_pk_mul_f32 v[66:67], v[46:47], s[0:1] op_sel:[1,0]
	s_mov_b32 s21, 0x3eedf032
	v_pk_add_f32 v[40:41], v[12:13], v[24:25]
	v_pk_add_f32 v[10:11], v[18:19], v[10:11]
	v_pk_fma_f32 v[18:19], v[38:39], s[16:17], v[66:67] op_sel_hi:[0,1,1] neg_lo:[0,0,1] neg_hi:[0,0,1]
	s_mov_b32 s42, s17
	s_mov_b32 s43, s6
	v_pk_mul_f32 v[64:65], v[44:45], s[20:21] op_sel:[1,0]
	v_pk_add_f32 v[58:59], v[14:15], v[26:27] neg_lo:[0,1] neg_hi:[0,1]
	s_mov_b32 s24, 0xbf29c268
	s_mov_b32 s25, s18
	v_mov_b32_e32 v60, v17
	v_pk_add_f32 v[42:43], v[14:15], v[26:27]
	v_pk_add_f32 v[10:11], v[10:11], v[18:19]
	v_pk_fma_f32 v[18:19], v[40:41], s[42:43], v[64:65] op_sel_hi:[0,1,1] neg_lo:[0,0,1] neg_hi:[0,0,1]
	s_mov_b32 s22, 0xbf3f9e67
	s_mov_b32 s23, s12
	v_pk_mul_f32 v[56:57], v[58:59], s[24:25] op_sel:[1,0]
	s_mov_b32 s0, s19
	s_mov_b32 s1, s24
	v_pk_add_f32 v[52:53], v[60:61], v[0:1] neg_lo:[0,1] neg_hi:[0,1]
	v_pk_add_f32 v[10:11], v[18:19], v[10:11]
	v_pk_fma_f32 v[18:19], v[42:43], s[22:23], v[56:57] op_sel_hi:[0,1,1] neg_lo:[0,0,1] neg_hi:[0,0,1]
	s_mov_b32 s46, s13
	s_mov_b32 s47, s22
	v_pk_add_f32 v[62:63], v[16:17], v[32:33]
	v_pk_mul_f32 v[54:55], v[52:53], s[0:1] op_sel_hi:[0,1]
	s_mov_b32 s2, s20
	s_mov_b32 s3, s18
	v_pk_add_f32 v[10:11], v[18:19], v[10:11]
	v_pk_fma_f32 v[18:19], v[62:63], s[46:47], v[54:55] op_sel_hi:[0,1,1] neg_lo:[0,0,1] neg_hi:[0,0,1]
	s_mov_b32 s48, s17
	s_mov_b32 s49, s12
	v_pk_mul_f32 v[82:83], v[50:51], s[2:3] op_sel:[1,0]
	s_mov_b32 s26, 0x3f29c268
	s_mov_b32 s27, s20
	v_pk_add_f32 v[18:19], v[18:19], v[10:11]
	v_pk_fma_f32 v[10:11], v[34:35], s[48:49], v[82:83] op_sel_hi:[0,1,1] neg_lo:[0,0,1] neg_hi:[0,0,1]
	s_mov_b32 s44, s22
	s_mov_b32 s45, s17
	v_pk_mul_f32 v[80:81], v[48:49], s[26:27] op_sel:[1,0]
	s_mov_b32 s2, s21
	s_mov_b32 s3, s19
	v_pk_add_f32 v[10:11], v[86:87], v[10:11] op_sel_hi:[0,1]
	v_pk_fma_f32 v[30:31], v[36:37], s[44:45], v[80:81] op_sel_hi:[0,1,1] neg_lo:[0,0,1] neg_hi:[0,0,1]
	s_mov_b32 s40, s6
	s_mov_b32 s41, s13
	v_pk_mul_f32 v[78:79], v[46:47], s[2:3] op_sel:[1,0]
	s_mov_b32 s2, s15
	s_mov_b32 s3, s26
	v_pk_add_f32 v[10:11], v[30:31], v[10:11]
	v_pk_fma_f32 v[30:31], v[38:39], s[40:41], v[78:79] op_sel_hi:[0,1,1] neg_lo:[0,0,1] neg_hi:[0,0,1]
	s_mov_b32 s38, s7
	s_mov_b32 s39, s22
	v_pk_mul_f32 v[76:77], v[44:45], s[2:3] op_sel:[1,0]
	s_mov_b32 s29, 0x3f7e222b
	s_mov_b32 s28, 0x3e750f2a
	v_pk_add_f32 v[10:11], v[10:11], v[30:31]
	;; [unrolled: 7-line block ×3, first 2 shown]
	v_pk_fma_f32 v[30:31], v[42:43], s[36:37], v[74:75] op_sel_hi:[0,1,1] neg_lo:[0,0,1] neg_hi:[0,0,1]
	s_mov_b32 s34, s12
	s_mov_b32 s35, s6
	v_pk_mul_f32 v[72:73], v[52:53], s[30:31] op_sel_hi:[0,1]
	v_pk_add_f32 v[10:11], v[30:31], v[10:11]
	v_pk_fma_f32 v[30:31], v[62:63], s[34:35], v[72:73] op_sel_hi:[0,1,1] neg_lo:[0,0,1] neg_hi:[0,0,1]
	v_pk_mul_f32 v[84:85], v[50:51], s[0:1] op_sel:[1,0]
	s_mov_b32 s0, s21
	s_mov_b32 s1, s29
	v_pk_add_f32 v[30:31], v[30:31], v[10:11]
	v_pk_fma_f32 v[10:11], v[34:35], s[46:47], v[84:85] op_sel_hi:[0,1,1] neg_lo:[0,0,1] neg_hi:[0,0,1]
	v_pk_mul_f32 v[92:93], v[48:49], s[0:1] op_sel:[1,0]
	v_pk_add_f32 v[10:11], v[86:87], v[10:11] op_sel_hi:[0,1]
	v_pk_fma_f32 v[86:87], v[36:37], s[6:7], v[92:93] op_sel_hi:[0,1,1] neg_lo:[0,0,1] neg_hi:[0,0,1]
	v_pk_add_f32 v[10:11], v[86:87], v[10:11]
	v_pk_mul_f32 v[86:87], v[46:47], s[24:25] op_sel:[1,0]
	s_mov_b32 s31, s28
	v_pk_fma_f32 v[88:89], v[38:39], s[22:23], v[86:87] op_sel_hi:[0,1,1] neg_lo:[0,0,1] neg_hi:[0,0,1]
	v_pk_mul_f32 v[90:91], v[44:45], s[30:31] op_sel:[1,0]
	v_pk_add_f32 v[10:11], v[10:11], v[88:89]
	v_pk_fma_f32 v[88:89], v[40:41], s[12:13], v[90:91] op_sel_hi:[0,1,1] neg_lo:[0,0,1] neg_hi:[0,0,1]
	v_pk_add_f32 v[10:11], v[88:89], v[10:11]
	v_pk_mul_f32 v[88:89], v[58:59], s[20:21] op_sel:[1,0]
	s_mov_b32 s0, s29
	v_pk_fma_f32 v[94:95], v[42:43], s[42:43], v[88:89] op_sel_hi:[0,1,1] neg_lo:[0,0,1] neg_hi:[0,0,1]
	s_mov_b32 s1, s20
	v_pk_add_f32 v[10:11], v[94:95], v[10:11]
	v_pk_mul_f32 v[94:95], v[52:53], s[0:1] op_sel_hi:[0,1]
	v_and_b32_e32 v53, 1, v61
	v_mov_b32_e32 v61, 0x3e9
	v_cmp_eq_u32_e64 s[0:1], 1, v53
	v_pk_fma_f32 v[98:99], v[62:63], s[16:17], v[94:95] op_sel_hi:[0,1,1] neg_lo:[0,0,1] neg_hi:[0,0,1]
	v_pk_add_f32 v[10:11], v[98:99], v[10:11]
	v_cndmask_b32_e64 v53, 0, v61, s[0:1]
	s_movk_i32 s0, 0x4d
	v_cmp_gt_u32_e64 s[2:3], s0, v97
	v_lshlrev_b32_e32 v93, 2, v53
	s_and_saveexec_b64 s[0:1], s[2:3]
	s_cbranch_execz .LBB0_15
; %bb.14:
	v_pk_mul_f32 v[98:99], v[36:37], s[6:7] op_sel_hi:[0,1]
	v_add_f32_e32 v53, v92, v98
	v_pk_mul_f32 v[98:99], v[34:35], s[46:47] op_sel_hi:[0,1]
	v_add_f32_e32 v61, v84, v98
	v_pk_mul_f32 v[84:85], v[38:39], s[22:23] op_sel_hi:[0,1]
	v_add_f32_e32 v74, v86, v84
	v_pk_mul_f32 v[86:87], v[42:43], s[42:43] op_sel_hi:[0,1]
	v_add_f32_e32 v78, v88, v86
	v_pk_mul_f32 v[86:87], v[62:63], s[16:17] op_sel_hi:[0,1]
	v_mov_b32_e32 v72, v33
	v_add_f32_e32 v80, v94, v86
	v_pk_add_f32 v[86:87], v[72:73], v[4:5]
	v_pk_mul_f32 v[84:85], v[40:41], s[12:13] op_sel_hi:[0,1]
	v_pk_add_f32 v[86:87], v[86:87], v[6:7]
	v_add_f32_e32 v76, v90, v84
	v_pk_add_f32 v[86:87], v[86:87], v[8:9]
	v_pk_mul_f32 v[84:85], v[34:35], s[6:7] op_sel_hi:[0,1]
	v_pk_add_f32 v[86:87], v[86:87], v[12:13]
	v_mov_b32_e32 v88, v16
	v_pk_add_f32 v[86:87], v[86:87], v[14:15]
	v_mov_b32_e32 v89, v84
	v_mov_b32_e32 v87, v68
	v_pk_add_f32 v[86:87], v[86:87], v[88:89]
	v_pk_mul_f32 v[88:89], v[36:37], s[12:13] op_sel_hi:[0,1]
	v_pk_add_f32 v[90:91], v[70:71], v[88:89]
	v_pk_add_f32 v[86:87], v[86:87], v[32:33]
	v_mov_b32_e32 v91, v90
	v_mov_b32_e32 v90, v26
	v_pk_add_f32 v[86:87], v[86:87], v[90:91]
	v_pk_mul_f32 v[90:91], v[38:39], s[16:17] op_sel_hi:[0,1]
	v_pk_add_f32 v[94:95], v[66:67], v[90:91]
	v_mov_b32_e32 v68, v83
	v_mov_b32_e32 v95, v94
	v_mov_b32_e32 v94, v24
	v_pk_add_f32 v[86:87], v[86:87], v[94:95]
	v_pk_mul_f32 v[94:95], v[40:41], s[42:43] op_sel_hi:[0,1]
	v_pk_add_f32 v[98:99], v[64:65], v[94:95]
	v_pk_mul_f32 v[82:83], v[34:35], s[48:49] op_sel_hi:[0,1]
	v_mov_b32_e32 v99, v98
	v_mov_b32_e32 v98, v22
	v_pk_add_f32 v[86:87], v[86:87], v[98:99]
	v_pk_mul_f32 v[98:99], v[42:43], s[22:23] op_sel_hi:[0,1]
	v_pk_add_f32 v[100:101], v[56:57], v[98:99]
	v_mov_b32_e32 v84, v83
	v_mov_b32_e32 v101, v100
	;; [unrolled: 1-line block ×3, first 2 shown]
	v_mul_u32_u24_e32 v20, 52, v97
	v_add3_u32 v22, 0, v20, v93
	v_add_f32_e32 v20, v33, v61
	v_add_f32_e32 v20, v53, v20
	;; [unrolled: 1-line block ×6, first 2 shown]
	v_mov_b32_e32 v70, v81
	v_pk_mul_f32 v[80:81], v[36:37], s[44:45] op_sel_hi:[0,1]
	v_pk_add_f32 v[68:69], v[68:69], v[84:85]
	v_mov_b32_e32 v88, v81
	v_mov_b32_e32 v84, v33
	;; [unrolled: 1-line block ×4, first 2 shown]
	v_pk_mul_f32 v[78:79], v[38:39], s[40:41] op_sel_hi:[0,1]
	v_pk_add_f32 v[70:71], v[70:71], v[88:89]
	v_pk_add_f32 v[68:69], v[84:85], v[68:69]
	v_mov_b32_e32 v90, v79
	v_mov_b32_e32 v64, v77
	v_pk_mul_f32 v[76:77], v[40:41], s[38:39] op_sel_hi:[0,1]
	v_pk_add_f32 v[68:69], v[70:71], v[68:69]
	v_pk_add_f32 v[66:67], v[66:67], v[90:91]
	v_mov_b32_e32 v94, v77
	v_mov_b32_e32 v56, v75
	v_pk_mul_f32 v[74:75], v[42:43], s[36:37] op_sel_hi:[0,1]
	v_pk_add_f32 v[86:87], v[100:101], v[86:87]
	v_pk_mul_f32 v[100:101], v[62:63], s[46:47] op_sel_hi:[0,1]
	v_pk_add_f32 v[66:67], v[68:69], v[66:67]
	v_pk_add_f32 v[64:65], v[64:65], v[94:95]
	v_mov_b32_e32 v98, v75
	v_mov_b32_e32 v90, v62
	;; [unrolled: 1-line block ×3, first 2 shown]
	v_pk_mul_f32 v[62:63], v[62:63], s[34:35] op_sel_hi:[0,1]
	v_pk_add_f32 v[102:103], v[54:55], v[100:101]
	v_pk_add_f32 v[64:65], v[64:65], v[66:67]
	;; [unrolled: 1-line block ×3, first 2 shown]
	v_mov_b32_e32 v54, v73
	v_mov_b32_e32 v100, v63
	v_pk_add_f32 v[56:57], v[56:57], v[64:65]
	v_pk_add_f32 v[54:55], v[54:55], v[100:101]
	v_mov_b32_e32 v82, v34
	v_mov_b32_e32 v83, v34
	v_pk_add_f32 v[54:55], v[54:55], v[56:57]
	s_mov_b32 s35, s24
	s_mov_b32 s24, s17
	;; [unrolled: 1-line block ×3, first 2 shown]
	v_mov_b32_e32 v103, v102
	v_mov_b32_e32 v102, v28
	;; [unrolled: 1-line block ×6, first 2 shown]
	ds_write2_b32 v22, v54, v55 offset0:2 offset1:3
	s_mov_b32 s34, s20
	v_pk_mul_f32 v[54:55], v[82:83], s[24:25]
	s_mov_b32 s23, s7
	v_pk_add_f32 v[86:87], v[102:103], v[86:87]
	v_mov_b32_e32 v78, v49
	v_mov_b32_e32 v79, v49
	v_pk_fma_f32 v[54:55], v[80:81], s[34:35], v[54:55]
	s_mov_b32 s27, s29
	v_pk_mul_f32 v[56:57], v[70:71], s[22:23]
	ds_write2_b32 v22, v86, v87 offset1:1
	v_mov_b32_e32 v86, v38
	v_mov_b32_e32 v87, v38
	v_pk_add_f32 v[54:55], v[84:85], v[54:55]
	v_pk_fma_f32 v[56:57], v[78:79], s[26:27], v[56:57]
	s_mov_b32 s23, s18
	s_mov_b32 s18, s6
	s_mov_b32 s19, s12
	v_mov_b32_e32 v68, v47
	v_mov_b32_e32 v69, v47
	v_pk_add_f32 v[54:55], v[56:57], v[54:55]
	s_mov_b32 s22, s21
	v_pk_mul_f32 v[56:57], v[86:87], s[18:19]
	v_mov_b32_e32 v76, v40
	v_mov_b32_e32 v77, v40
	v_pk_fma_f32 v[56:57], v[68:69], s[22:23], v[56:57]
	s_mov_b32 s18, s7
	s_mov_b32 s19, s13
	v_mov_b32_e32 v88, v45
	v_mov_b32_e32 v89, v45
	v_pk_add_f32 v[54:55], v[54:55], v[56:57]
	s_mov_b32 s14, s15
	s_mov_b32 s15, s28
	v_pk_mul_f32 v[56:57], v[76:77], s[18:19]
	v_mov_b32_e32 v66, v42
	v_mov_b32_e32 v67, v42
	v_pk_fma_f32 v[56:57], v[88:89], s[14:15], v[56:57]
	s_mov_b32 s14, s13
	s_mov_b32 s15, s6
	v_mov_b32_e32 v74, v59
	v_mov_b32_e32 v75, v59
	v_pk_add_f32 v[54:55], v[56:57], v[54:55]
	s_mov_b32 s29, s21
	v_pk_mul_f32 v[56:57], v[66:67], s[14:15]
	s_mov_b32 s13, s17
	v_pk_fma_f32 v[56:57], v[74:75], s[28:29], v[56:57]
	v_mov_b32_e32 v53, v52
	v_pk_add_f32 v[54:55], v[56:57], v[54:55]
	s_mov_b32 s31, s20
	v_pk_mul_f32 v[56:57], v[90:91], s[12:13]
	s_nop 0
	v_pk_fma_f32 v[52:53], v[52:53], s[30:31], v[56:57]
	s_nop 0
	v_pk_add_f32 v[52:53], v[52:53], v[54:55]
	ds_write2_b32 v22, v52, v53 offset0:4 offset1:5
	ds_write_b32 v22, v20 offset:24
	ds_write2_b32 v22, v10, v11 offset0:7 offset1:8
	ds_write2_b32 v22, v30, v19 offset0:9 offset1:10
	v_mov_b32_e32 v20, v31
	ds_write2_b32 v22, v31, v18 offset0:11 offset1:12
.LBB0_15:
	s_or_b64 exec, exec, s[0:1]
	v_lshlrev_b32_e32 v22, 2, v97
	v_add_u32_e32 v28, 0, v22
	v_add3_u32 v20, 0, v93, v22
	v_add_u32_e32 v22, v28, v93
	v_add_u32_e32 v26, 0x200, v22
	s_waitcnt lgkmcnt(0)
	s_barrier
	ds_read2_b32 v[56:57], v26 offset0:15 offset1:158
	v_add_u32_e32 v26, 0x600, v22
	v_add_u32_e32 v61, 0xa00, v22
	ds_read_b32 v24, v20
	ds_read2_b32 v[54:55], v26 offset0:45 offset1:188
	ds_read2_b32 v[52:53], v61 offset0:75 offset1:218
	v_cmp_gt_u32_e64 s[0:1], 52, v97
                                        ; implicit-def: $vgpr26
	s_and_saveexec_b64 s[6:7], s[0:1]
	s_cbranch_execz .LBB0_17
; %bb.16:
	v_add_u32_e32 v10, 0x500, v22
	ds_read2_b32 v[62:63], v61 offset0:23 offset1:166
	ds_read2_b32 v[18:19], v10 offset0:57 offset1:200
	;; [unrolled: 1-line block ×3, first 2 shown]
	ds_read_b32 v26, v22 offset:3796
	s_waitcnt lgkmcnt(3)
	v_mov_b32_e32 v31, v62
	s_waitcnt lgkmcnt(2)
	v_mov_b32_e32 v30, v18
	v_mov_b32_e32 v18, v63
.LBB0_17:
	s_or_b64 exec, exec, s[6:7]
	s_mov_b32 s6, 0x3f116cb1
	s_mov_b32 s27, 0xbeedf032
	;; [unrolled: 1-line block ×4, first 2 shown]
	v_pk_mul_f32 v[64:65], v[50:51], s[26:27] op_sel_hi:[0,1]
	s_mov_b32 s12, 0xbf6f5d39
	s_mov_b32 s13, s26
	v_pk_add_f32 v[88:89], v[60:61], v[0:1]
	v_pk_fma_f32 v[60:61], v[34:35], s[6:7], v[64:65] op_sel:[1,0,0]
	s_mov_b32 s14, 0xbeb58ec6
	s_mov_b32 s15, s6
	v_pk_mul_f32 v[66:67], v[48:49], s[12:13] op_sel_hi:[0,1]
	s_mov_b32 s16, 0xbf788fa5
	s_mov_b32 s23, 0xbf7e222b
	;; [unrolled: 1-line block ×3, first 2 shown]
	v_pk_add_f32 v[60:61], v[0:1], v[60:61] op_sel:[1,0]
	v_pk_fma_f32 v[62:63], v[36:37], s[14:15], v[66:67] op_sel:[1,0,0]
	s_mov_b32 s17, 0x3df6dbef
	v_pk_mul_f32 v[68:69], v[46:47], s[22:23] op_sel_hi:[0,1]
	s_mov_b32 s30, 0x3f29c268
	s_mov_b32 s31, s12
	v_pk_add_f32 v[60:61], v[62:63], v[60:61]
	v_pk_fma_f32 v[62:63], v[38:39], s[16:17], v[68:69] op_sel:[1,0,0]
	s_mov_b32 s18, 0xbf3f9e67
	s_mov_b32 s19, s14
	v_pk_mul_f32 v[70:71], v[44:45], s[30:31] op_sel_hi:[0,1]
	s_mov_b32 s41, 0xbf29c268
	s_mov_b32 s40, 0x3f7e222b
	v_pk_add_f32 v[32:33], v[16:17], v[32:33] neg_lo:[0,1] neg_hi:[0,1]
	v_pk_add_f32 v[60:61], v[60:61], v[62:63]
	v_pk_fma_f32 v[62:63], v[40:41], s[18:19], v[70:71] op_sel:[1,0,0]
	s_mov_b32 s20, s17
	s_mov_b32 s21, s18
	v_pk_mul_f32 v[82:83], v[58:59], s[40:41] op_sel_hi:[0,1]
	s_mov_b32 s38, 0x3eedf032
	s_mov_b32 s39, s22
	v_pk_add_f32 v[60:61], v[62:63], v[60:61]
	v_pk_fma_f32 v[62:63], v[42:43], s[20:21], v[82:83] op_sel:[1,0,0]
	s_mov_b32 s24, s7
	s_mov_b32 s25, s16
	v_pk_mul_f32 v[86:87], v[32:33], s[38:39] op_sel_hi:[0,1]
	s_mov_b32 s28, s23
	s_mov_b32 s29, s41
	v_pk_add_f32 v[60:61], v[62:63], v[60:61]
	v_pk_fma_f32 v[62:63], v[88:89], s[24:25], v[86:87] op_sel_hi:[0,1,1]
	v_pk_mul_f32 v[84:85], v[50:51], s[28:29] op_sel_hi:[0,1]
	s_mov_b32 s28, s22
	s_mov_b32 s29, s40
	v_pk_add_f32 v[60:61], v[62:63], v[60:61]
	v_pk_fma_f32 v[62:63], v[34:35], s[20:21], v[84:85] op_sel:[1,0,0]
	v_pk_mul_f32 v[80:81], v[48:49], s[28:29] op_sel_hi:[0,1]
	s_mov_b32 s28, 0x3f6f5d39
	s_mov_b32 s29, s26
	v_pk_add_f32 v[62:63], v[0:1], v[62:63] op_sel:[1,0]
	v_pk_fma_f32 v[72:73], v[36:37], s[16:17], v[80:81] op_sel:[1,0,0]
	v_pk_mul_f32 v[78:79], v[46:47], s[28:29] op_sel_hi:[0,1]
	s_mov_b32 s39, 0x3e750f2a
	v_pk_add_f32 v[62:63], v[72:73], v[62:63]
	v_pk_fma_f32 v[72:73], v[38:39], s[14:15], v[78:79] op_sel:[1,0,0]
	v_pk_mul_f32 v[76:77], v[44:45], s[38:39] op_sel_hi:[0,1]
	s_mov_b32 s27, s38
	v_pk_add_f32 v[62:63], v[62:63], v[72:73]
	v_pk_fma_f32 v[72:73], v[40:41], s[24:25], v[76:77] op_sel:[1,0,0]
	v_pk_mul_f32 v[74:75], v[58:59], s[26:27] op_sel_hi:[0,1]
	v_pk_add_f32 v[62:63], v[72:73], v[62:63]
	v_pk_fma_f32 v[72:73], v[42:43], s[6:7], v[74:75] op_sel:[1,0,0]
	s_mov_b32 s26, s41
	s_mov_b32 s27, s12
	v_pk_add_f32 v[62:63], v[72:73], v[62:63]
	v_pk_mul_f32 v[72:73], v[32:33], s[26:27] op_sel_hi:[0,1]
	s_mov_b32 s28, s22
	s_mov_b32 s29, s12
	v_pk_fma_f32 v[90:91], v[88:89], s[18:19], v[72:73] op_sel_hi:[0,1,1]
	s_mov_b32 s26, s16
	s_mov_b32 s27, s14
	v_pk_mul_f32 v[50:51], v[50:51], s[28:29] op_sel_hi:[0,1]
	s_mov_b32 s34, s38
	s_mov_b32 s35, s30
	v_pk_add_f32 v[62:63], v[90:91], v[62:63]
	v_pk_fma_f32 v[90:91], v[34:35], s[26:27], v[50:51] op_sel:[1,0,0]
	s_mov_b32 s28, s7
	s_mov_b32 s29, s18
	v_pk_mul_f32 v[48:49], v[48:49], s[34:35] op_sel_hi:[0,1]
	s_mov_b32 s34, s41
	s_mov_b32 s35, s38
	v_pk_add_f32 v[90:91], v[0:1], v[90:91] op_sel:[1,0]
	v_pk_fma_f32 v[94:95], v[36:37], s[28:29], v[48:49] op_sel:[1,0,0]
	s_mov_b32 s30, s18
	s_mov_b32 s31, s7
	v_pk_mul_f32 v[46:47], v[46:47], s[34:35] op_sel_hi:[0,1]
	s_mov_b32 s22, 0x3f52af12
	v_pk_add_f32 v[90:91], v[94:95], v[90:91]
	v_pk_fma_f32 v[94:95], v[38:39], s[30:31], v[46:47] op_sel:[1,0,0]
	s_mov_b32 s34, s6
	s_mov_b32 s35, s17
	v_pk_mul_f32 v[44:45], v[44:45], s[22:23] op_sel_hi:[0,1]
	s_mov_b32 s13, s39
	v_pk_add_f32 v[90:91], v[90:91], v[94:95]
	v_pk_fma_f32 v[94:95], v[40:41], s[34:35], v[44:45] op_sel:[1,0,0]
	s_mov_b32 s36, s14
	s_mov_b32 s37, s16
	v_pk_mul_f32 v[58:59], v[58:59], s[12:13] op_sel_hi:[0,1]
	v_pk_add_f32 v[90:91], v[94:95], v[90:91]
	v_pk_fma_f32 v[94:95], v[42:43], s[36:37], v[58:59] op_sel:[1,0,0]
	s_mov_b32 s41, s22
	v_pk_add_f32 v[94:95], v[94:95], v[90:91]
	s_mov_b32 s38, s17
	s_mov_b32 s39, s6
	v_pk_mul_f32 v[90:91], v[32:33], s[40:41] op_sel_hi:[0,1]
	v_pk_fma_f32 v[32:33], v[88:89], s[38:39], v[90:91] op_sel_hi:[0,1,1]
	v_pk_add_f32 v[32:33], v[32:33], v[94:95]
	s_waitcnt lgkmcnt(0)
	s_barrier
	s_and_saveexec_b64 s[12:13], s[2:3]
	s_cbranch_execz .LBB0_19
; %bb.18:
	v_pk_add_f32 v[4:5], v[0:1], v[4:5]
	v_pk_mul_f32 v[94:95], v[34:35], s[6:7] op_sel:[1,0]
	v_pk_add_f32 v[4:5], v[4:5], v[6:7]
	v_pk_mul_f32 v[100:101], v[36:37], s[14:15] op_sel:[1,0]
	v_pk_add_f32 v[4:5], v[4:5], v[8:9]
	v_pk_add_f32 v[6:7], v[94:95], v[64:65] neg_lo:[0,1] neg_hi:[0,1]
	v_pk_add_f32 v[4:5], v[4:5], v[12:13]
	v_pk_mul_f32 v[102:103], v[38:39], s[16:17] op_sel:[1,0]
	v_pk_add_f32 v[4:5], v[4:5], v[14:15]
	v_pk_add_f32 v[8:9], v[100:101], v[66:67] neg_lo:[0,1] neg_hi:[0,1]
	v_pk_add_f32 v[4:5], v[4:5], v[16:17]
	v_pk_mul_f32 v[104:105], v[40:41], s[18:19] op_sel:[1,0]
	v_mov_b32_e32 v6, v5
	v_pk_add_f32 v[12:13], v[102:103], v[68:69] neg_lo:[0,1] neg_hi:[0,1]
	v_pk_add_f32 v[4:5], v[6:7], v[0:1]
	v_mov_b32_e32 v8, v27
	v_pk_mul_f32 v[106:107], v[42:43], s[20:21] op_sel:[1,0]
	v_pk_add_f32 v[14:15], v[104:105], v[70:71] neg_lo:[0,1] neg_hi:[0,1]
	v_pk_add_f32 v[4:5], v[4:5], v[8:9]
	v_mov_b32_e32 v12, v25
	v_pk_mul_f32 v[108:109], v[88:89], s[24:25] op_sel_hi:[0,1]
	v_pk_add_f32 v[16:17], v[106:107], v[82:83] neg_lo:[0,1] neg_hi:[0,1]
	v_pk_add_f32 v[4:5], v[4:5], v[12:13]
	v_mov_b32_e32 v14, v23
	v_pk_mul_f32 v[110:111], v[34:35], s[20:21] op_sel:[1,0]
	v_pk_add_f32 v[4:5], v[4:5], v[14:15]
	v_mov_b32_e32 v16, v21
	v_pk_add_f32 v[6:7], v[108:109], v[86:87] neg_lo:[0,1] neg_hi:[0,1]
	v_pk_mul_f32 v[112:113], v[36:37], s[16:17] op_sel:[1,0]
	v_pk_add_f32 v[4:5], v[16:17], v[4:5]
	v_mov_b32_e32 v6, v29
	v_mov_b32_e32 v95, v110
	;; [unrolled: 1-line block ×5, first 2 shown]
	v_pk_mul_f32 v[114:115], v[38:39], s[14:15] op_sel:[1,0]
	v_pk_add_f32 v[4:5], v[6:7], v[4:5]
	v_pk_add_f32 v[6:7], v[94:95], v[64:65] neg_lo:[0,1] neg_hi:[0,1]
	v_mov_b32_e32 v101, v112
	v_mov_b32_e32 v67, v80
	v_pk_mul_f32 v[116:117], v[40:41], s[24:25] op_sel:[1,0]
	v_pk_add_f32 v[6:7], v[98:99], v[6:7]
	v_pk_add_f32 v[8:9], v[100:101], v[66:67] neg_lo:[0,1] neg_hi:[0,1]
	v_mov_b32_e32 v103, v114
	v_mov_b32_e32 v69, v78
	v_pk_mul_f32 v[118:119], v[42:43], s[6:7] op_sel:[1,0]
	v_pk_add_f32 v[6:7], v[8:9], v[6:7]
	v_pk_add_f32 v[8:9], v[102:103], v[68:69] neg_lo:[0,1] neg_hi:[0,1]
	v_mov_b32_e32 v105, v116
	v_mov_b32_e32 v71, v76
	v_pk_mul_f32 v[120:121], v[88:89], s[18:19] op_sel_hi:[0,1]
	v_pk_add_f32 v[6:7], v[6:7], v[8:9]
	v_pk_add_f32 v[8:9], v[104:105], v[70:71] neg_lo:[0,1] neg_hi:[0,1]
	v_mov_b32_e32 v107, v118
	v_mov_b32_e32 v83, v74
	v_pk_mul_f32 v[34:35], v[34:35], s[26:27] op_sel:[1,0]
	v_pk_add_f32 v[6:7], v[8:9], v[6:7]
	v_pk_add_f32 v[8:9], v[106:107], v[82:83] neg_lo:[0,1] neg_hi:[0,1]
	v_mov_b32_e32 v109, v120
	v_mov_b32_e32 v87, v72
	v_pk_mul_f32 v[36:37], v[36:37], s[28:29] op_sel:[1,0]
	;; [unrolled: 5-line block ×5, first 2 shown]
	v_pk_add_f32 v[8:9], v[12:13], v[8:9]
	v_pk_add_f32 v[12:13], v[114:115], v[78:79] neg_lo:[0,1] neg_hi:[0,1]
	v_mov_b32_e32 v116, v41
	v_mov_b32_e32 v76, v45
	v_pk_mul_f32 v[88:89], v[88:89], s[38:39] op_sel_hi:[0,1]
	v_pk_add_f32 v[8:9], v[8:9], v[12:13]
	v_pk_add_f32 v[12:13], v[116:117], v[76:77] neg_lo:[0,1] neg_hi:[0,1]
	v_mov_b32_e32 v118, v43
	v_mov_b32_e32 v74, v59
	v_pk_add_f32 v[8:9], v[12:13], v[8:9]
	v_pk_add_f32 v[12:13], v[118:119], v[74:75] neg_lo:[0,1] neg_hi:[0,1]
	v_mov_b32_e32 v120, v89
	v_mov_b32_e32 v72, v91
	v_pk_add_f32 v[8:9], v[12:13], v[8:9]
	v_pk_add_f32 v[12:13], v[120:121], v[72:73] neg_lo:[0,1] neg_hi:[0,1]
	v_sub_f32_e32 v0, v36, v48
	v_pk_add_f32 v[8:9], v[12:13], v[8:9]
	v_sub_f32_e32 v12, v34, v50
	v_add_f32_e32 v1, v1, v12
	v_add_f32_e32 v0, v0, v1
	v_sub_f32_e32 v1, v38, v46
	v_add_f32_e32 v0, v0, v1
	v_sub_f32_e32 v1, v40, v44
	;; [unrolled: 2-line block ×4, first 2 shown]
	v_add_f32_e32 v0, v1, v0
	v_mul_u32_u24_e32 v1, 48, v97
	v_add3_u32 v12, v28, v1, v93
	ds_write2_b32 v12, v4, v5 offset1:1
	ds_write2_b32 v12, v6, v7 offset0:2 offset1:3
	ds_write2_b32 v12, v8, v9 offset0:4 offset1:5
	ds_write_b32 v12, v0 offset:24
	ds_write2_b32 v12, v32, v63 offset0:7 offset1:8
	ds_write2_b32 v12, v33, v62 offset0:9 offset1:10
	;; [unrolled: 1-line block ×3, first 2 shown]
.LBB0_19:
	s_or_b64 exec, exec, s[12:13]
	v_add_u32_e32 v0, 0x200, v22
	s_waitcnt lgkmcnt(0)
	s_barrier
	ds_read2_b32 v[6:7], v0 offset0:15 offset1:158
	v_add_u32_e32 v0, 0x600, v22
	v_add_u32_e32 v12, 0xa00, v22
	ds_read_b32 v8, v20
	ds_read2_b32 v[4:5], v0 offset0:45 offset1:188
	ds_read2_b32 v[0:1], v12 offset0:75 offset1:218
                                        ; implicit-def: $vgpr9
	s_and_saveexec_b64 s[2:3], s[0:1]
	s_cbranch_execz .LBB0_21
; %bb.20:
	ds_read2_b32 v[62:63], v22 offset0:91 offset1:234
	v_add_u32_e32 v9, 0x500, v22
	ds_read2_b32 v[14:15], v9 offset0:57 offset1:200
	ds_read2_b32 v[60:61], v12 offset0:23 offset1:166
	ds_read_b32 v9, v22 offset:3796
	s_waitcnt lgkmcnt(2)
	v_mov_b32_e32 v33, v14
	v_mov_b32_e32 v32, v62
	;; [unrolled: 1-line block ×3, first 2 shown]
.LBB0_21:
	s_or_b64 exec, exec, s[2:3]
	s_movk_i32 s2, 0x4f
	v_mul_lo_u16_sdwa v12, v97, s2 dst_sel:DWORD dst_unused:UNUSED_PAD src0_sel:BYTE_0 src1_sel:DWORD
	v_add_u16_e32 v15, 0x5b, v97
	v_lshrrev_b16_e32 v50, 10, v12
	v_mul_lo_u16_sdwa v14, v15, s2 dst_sel:DWORD dst_unused:UNUSED_PAD src0_sel:BYTE_0 src1_sel:DWORD
	v_mul_lo_u16_e32 v12, 13, v50
	v_lshrrev_b16_e32 v14, 10, v14
	v_sub_u16_e32 v51, v97, v12
	v_mov_b32_e32 v12, 6
	v_mul_lo_u16_e32 v16, 13, v14
	v_mul_u32_u24_sdwa v13, v51, v12 dst_sel:DWORD dst_unused:UNUSED_PAD src0_sel:BYTE_0 src1_sel:DWORD
	v_sub_u16_e32 v15, v15, v16
	v_lshlrev_b32_e32 v13, 3, v13
	v_mul_u32_u24_sdwa v12, v15, v12 dst_sel:DWORD dst_unused:UNUSED_PAD src0_sel:BYTE_0 src1_sel:DWORD
	global_load_dwordx4 v[38:41], v13, s[4:5]
	global_load_dwordx4 v[42:45], v13, s[4:5] offset:16
	global_load_dwordx4 v[46:49], v13, s[4:5] offset:32
	v_lshlrev_b32_e32 v12, 3, v12
	global_load_dwordx4 v[64:67], v12, s[4:5]
	global_load_dwordx4 v[68:71], v12, s[4:5] offset:16
	global_load_dwordx4 v[72:75], v12, s[4:5] offset:32
	s_mov_b32 s6, 0xbf5ff5aa
	s_mov_b32 s7, 0x3f3bfb3b
	;; [unrolled: 1-line block ×4, first 2 shown]
	s_movk_i32 s14, 0x16c
	s_waitcnt lgkmcnt(0)
	s_barrier
	s_waitcnt vmcnt(5)
	v_mul_f32_e32 v12, v6, v39
	v_mul_f32_e32 v13, v7, v41
	s_waitcnt vmcnt(3)
	v_mul_f32_e32 v36, v0, v47
	v_mul_f32_e32 v37, v1, v49
	;; [unrolled: 1-line block ×10, first 2 shown]
	s_waitcnt vmcnt(2)
	v_mul_f32_e32 v17, v33, v67
	v_mul_f32_e32 v49, v30, v67
	s_waitcnt vmcnt(0)
	v_mul_f32_e32 v27, v9, v75
	v_mul_f32_e32 v67, v26, v75
	v_fmac_f32_e32 v12, v56, v38
	v_fmac_f32_e32 v13, v57, v40
	;; [unrolled: 1-line block ×4, first 2 shown]
	v_mul_f32_e32 v16, v63, v65
	v_mul_f32_e32 v23, v60, v71
	v_fma_f32 v6, v6, v38, -v28
	v_fma_f32 v7, v7, v40, -v29
	v_fmac_f32_e32 v34, v54, v42
	v_fma_f32 v4, v4, v42, -v39
	v_fmac_f32_e32 v35, v55, v44
	v_fma_f32 v5, v5, v44, -v41
	v_fma_f32 v0, v0, v46, -v43
	;; [unrolled: 1-line block ×3, first 2 shown]
	v_fmac_f32_e32 v17, v30, v66
	v_fmac_f32_e32 v27, v26, v74
	v_fma_f32 v26, v9, v74, -v67
	v_add_f32_e32 v9, v12, v37
	v_add_f32_e32 v30, v13, v36
	v_mul_f32_e32 v47, v11, v65
	v_mul_f32_e32 v59, v31, v71
	v_fmac_f32_e32 v16, v11, v64
	v_fma_f32 v28, v33, v66, -v49
	v_fmac_f32_e32 v23, v31, v70
	v_sub_f32_e32 v11, v6, v38
	v_sub_f32_e32 v31, v7, v0
	v_add_f32_e32 v33, v34, v35
	v_sub_f32_e32 v39, v5, v4
	v_add_f32_e32 v40, v30, v9
	v_sub_f32_e32 v41, v30, v9
	v_sub_f32_e32 v9, v9, v33
	;; [unrolled: 1-line block ×3, first 2 shown]
	v_add_f32_e32 v42, v39, v31
	v_sub_f32_e32 v43, v39, v31
	v_sub_f32_e32 v31, v31, v11
	v_add_f32_e32 v33, v33, v40
	v_sub_f32_e32 v39, v11, v39
	v_add_f32_e32 v11, v42, v11
	v_mul_f32_e32 v9, 0x3f4a47b2, v9
	v_mul_f32_e32 v40, 0x3d64c772, v30
	;; [unrolled: 1-line block ×4, first 2 shown]
	v_add_f32_e32 v44, v24, v33
	v_fma_f32 v24, v41, s7, -v40
	v_fmamk_f32 v33, v33, 0xbf955555, v44
	v_fma_f32 v40, v41, s12, -v9
	v_fmac_f32_e32 v9, 0x3d64c772, v30
	v_fma_f32 v30, v31, s6, -v42
	v_fmac_f32_e32 v42, 0xbeae86e6, v39
	v_fma_f32 v31, v39, s13, -v43
	v_add_f32_e32 v9, v9, v33
	v_add_f32_e32 v24, v24, v33
	;; [unrolled: 1-line block ×3, first 2 shown]
	v_fmac_f32_e32 v42, 0xbee1c552, v11
	v_fmac_f32_e32 v31, 0xbee1c552, v11
	;; [unrolled: 1-line block ×3, first 2 shown]
	v_add_f32_e32 v11, v42, v9
	v_add_f32_e32 v39, v31, v33
	v_sub_f32_e32 v31, v33, v31
	v_sub_f32_e32 v33, v9, v42
	v_mov_b32_e32 v9, 2
	v_mul_f32_e32 v21, v62, v69
	v_mul_f32_e32 v58, v19, v69
	;; [unrolled: 1-line block ×4, first 2 shown]
	v_sub_f32_e32 v40, v24, v30
	v_add_f32_e32 v30, v30, v24
	v_mad_u32_u24 v24, v50, s14, 0
	v_lshlrev_b32_sdwa v41, v9, v51 dst_sel:DWORD dst_unused:UNUSED_PAD src0_sel:DWORD src1_sel:BYTE_0
	v_fma_f32 v1, v63, v64, -v47
	v_fmac_f32_e32 v21, v19, v68
	v_fma_f32 v19, v62, v68, -v58
	v_fma_f32 v29, v60, v70, -v59
	v_fmac_f32_e32 v25, v18, v72
	v_fma_f32 v18, v61, v72, -v65
	v_add3_u32 v24, v24, v41, v93
	ds_write2_b32 v24, v44, v11 offset1:13
	ds_write2_b32 v24, v39, v40 offset0:26 offset1:39
	ds_write2_b32 v24, v30, v31 offset0:52 offset1:65
	ds_write_b32 v24, v33 offset:312
	s_and_saveexec_b64 s[2:3], s[0:1]
	s_cbranch_execz .LBB0_23
; %bb.22:
	v_add_f32_e32 v11, v16, v27
	v_add_f32_e32 v33, v17, v25
	;; [unrolled: 1-line block ×4, first 2 shown]
	v_sub_f32_e32 v42, v29, v19
	v_sub_f32_e32 v44, v28, v18
	;; [unrolled: 1-line block ×4, first 2 shown]
	v_add_f32_e32 v30, v30, v41
	v_sub_f32_e32 v41, v1, v26
	v_sub_f32_e32 v45, v42, v44
	v_mul_f32_e32 v31, 0x3f4a47b2, v31
	v_mul_f32_e32 v40, 0x3d64c772, v39
	v_add_f32_e32 v10, v10, v30
	v_sub_f32_e32 v43, v41, v42
	v_mul_f32_e32 v45, 0x3f08b237, v45
	v_add_f32_e32 v42, v42, v44
	v_sub_f32_e32 v11, v33, v11
	v_sub_f32_e32 v33, v44, v41
	v_fmamk_f32 v39, v39, 0x3d64c772, v31
	v_fmamk_f32 v30, v30, 0xbf955555, v10
	;; [unrolled: 1-line block ×3, first 2 shown]
	v_add_f32_e32 v42, v42, v41
	v_fma_f32 v31, v11, s12, -v31
	v_mul_f32_e32 v41, 0xbf5ff5aa, v33
	v_fma_f32 v33, v33, s6, -v45
	v_fma_f32 v11, v11, s7, -v40
	v_add_f32_e32 v39, v39, v30
	v_fmac_f32_e32 v46, 0xbee1c552, v42
	v_fmac_f32_e32 v33, 0xbee1c552, v42
	v_add_f32_e32 v11, v11, v30
	v_sub_f32_e32 v47, v39, v46
	v_add_f32_e32 v31, v31, v30
	v_fma_f32 v41, v43, s13, -v41
	v_add_f32_e32 v30, v33, v11
	v_sub_f32_e32 v11, v11, v33
	v_add_f32_e32 v33, v46, v39
	v_mad_u32_u24 v39, v14, s14, 0
	v_lshlrev_b32_sdwa v9, v9, v15 dst_sel:DWORD dst_unused:UNUSED_PAD src0_sel:DWORD src1_sel:BYTE_0
	v_fmac_f32_e32 v41, 0xbee1c552, v42
	v_add3_u32 v9, v39, v9, v93
	v_sub_f32_e32 v43, v31, v41
	v_add_f32_e32 v31, v41, v31
	ds_write2_b32 v9, v10, v33 offset1:13
	ds_write2_b32 v9, v31, v11 offset0:26 offset1:39
	ds_write2_b32 v9, v30, v43 offset0:52 offset1:65
	ds_write_b32 v9, v47 offset:312
.LBB0_23:
	s_or_b64 exec, exec, s[2:3]
	v_add_f32_e32 v6, v6, v38
	v_add_f32_e32 v0, v7, v0
	v_sub_f32_e32 v9, v12, v37
	v_sub_f32_e32 v7, v13, v36
	v_add_f32_e32 v4, v4, v5
	v_sub_f32_e32 v5, v35, v34
	v_add_f32_e32 v10, v0, v6
	v_sub_f32_e32 v11, v0, v6
	v_sub_f32_e32 v6, v6, v4
	;; [unrolled: 1-line block ×3, first 2 shown]
	v_add_f32_e32 v12, v5, v7
	v_sub_f32_e32 v13, v5, v7
	v_sub_f32_e32 v7, v7, v9
	v_add_f32_e32 v4, v4, v10
	v_sub_f32_e32 v5, v9, v5
	v_add_f32_e32 v9, v12, v9
	v_add_f32_e32 v30, v8, v4
	v_mul_f32_e32 v6, 0x3f4a47b2, v6
	v_mul_f32_e32 v8, 0x3d64c772, v0
	;; [unrolled: 1-line block ×4, first 2 shown]
	v_fmamk_f32 v4, v4, 0xbf955555, v30
	v_fma_f32 v8, v11, s7, -v8
	v_fma_f32 v11, v11, s12, -v6
	v_fmac_f32_e32 v6, 0x3d64c772, v0
	v_fma_f32 v0, v7, s6, -v10
	v_fmac_f32_e32 v10, 0xbeae86e6, v5
	v_fma_f32 v5, v5, s13, -v12
	v_add_f32_e32 v6, v6, v4
	v_add_f32_e32 v7, v8, v4
	;; [unrolled: 1-line block ×3, first 2 shown]
	v_fmac_f32_e32 v5, 0xbee1c552, v9
	v_fmac_f32_e32 v10, 0xbee1c552, v9
	;; [unrolled: 1-line block ×3, first 2 shown]
	v_sub_f32_e32 v33, v4, v5
	v_add_f32_e32 v36, v5, v4
	v_add_u32_e32 v4, 0x400, v22
	v_sub_f32_e32 v31, v6, v10
	v_add_f32_e32 v34, v0, v7
	v_sub_f32_e32 v35, v7, v0
	v_add_f32_e32 v37, v10, v6
	s_waitcnt lgkmcnt(0)
	s_barrier
	ds_read_b32 v0, v20
	ds_read2_b32 v[12:13], v22 offset0:91 offset1:182
	ds_read2_b32 v[6:7], v4 offset0:17 offset1:108
	v_add_u32_e32 v4, 0x600, v22
	v_add_u32_e32 v8, 0x800, v22
	;; [unrolled: 1-line block ×3, first 2 shown]
	ds_read2_b32 v[4:5], v4 offset0:71 offset1:162
	ds_read2_b32 v[8:9], v8 offset0:125 offset1:216
	;; [unrolled: 1-line block ×3, first 2 shown]
	s_waitcnt lgkmcnt(0)
	s_barrier
	ds_write2_b32 v24, v30, v31 offset1:13
	ds_write2_b32 v24, v33, v34 offset0:26 offset1:39
	ds_write2_b32 v24, v35, v36 offset0:52 offset1:65
	ds_write_b32 v24, v37 offset:312
	s_and_saveexec_b64 s[2:3], s[0:1]
	s_cbranch_execz .LBB0_25
; %bb.24:
	v_add_f32_e32 v1, v1, v26
	v_add_f32_e32 v18, v28, v18
	v_sub_f32_e32 v17, v17, v25
	v_add_f32_e32 v19, v19, v29
	v_sub_f32_e32 v21, v23, v21
	v_sub_f32_e32 v16, v16, v27
	v_add_f32_e32 v23, v18, v1
	v_sub_f32_e32 v24, v18, v1
	;; [unrolled: 3-line block ×3, first 2 shown]
	v_sub_f32_e32 v26, v21, v17
	v_sub_f32_e32 v21, v16, v21
	;; [unrolled: 1-line block ×3, first 2 shown]
	v_add_f32_e32 v19, v19, v23
	v_add_f32_e32 v16, v25, v16
	v_mul_f32_e32 v25, 0x3d64c772, v18
	s_mov_b32 s1, 0x3f3bfb3b
	v_add_f32_e32 v23, v32, v19
	v_mul_f32_e32 v1, 0x3f4a47b2, v1
	v_mul_f32_e32 v26, 0x3f08b237, v26
	s_mov_b32 s0, 0xbf5ff5aa
	v_fma_f32 v25, v24, s1, -v25
	s_mov_b32 s1, 0xbf3bfb3b
	v_mul_f32_e32 v27, 0xbf5ff5aa, v17
	v_fmamk_f32 v19, v19, 0xbf955555, v23
	v_fma_f32 v24, v24, s1, -v1
	v_fmac_f32_e32 v1, 0x3d64c772, v18
	v_fmamk_f32 v18, v21, 0xbeae86e6, v26
	v_fma_f32 v17, v17, s0, -v26
	s_mov_b32 s0, 0x3eae86e6
	v_fma_f32 v21, v21, s0, -v27
	v_add_f32_e32 v1, v1, v19
	v_fmac_f32_e32 v18, 0xbee1c552, v16
	v_fmac_f32_e32 v17, 0xbee1c552, v16
	;; [unrolled: 1-line block ×3, first 2 shown]
	v_sub_f32_e32 v16, v1, v18
	v_add_f32_e32 v1, v18, v1
	s_movk_i32 s0, 0x16c
	v_mov_b32_e32 v18, 2
	v_mad_u32_u24 v14, v14, s0, 0
	v_lshlrev_b32_sdwa v15, v18, v15 dst_sel:DWORD dst_unused:UNUSED_PAD src0_sel:DWORD src1_sel:BYTE_0
	v_add_f32_e32 v25, v25, v19
	v_add_f32_e32 v19, v24, v19
	v_add3_u32 v14, v14, v15, v93
	v_sub_f32_e32 v24, v19, v21
	v_add_f32_e32 v26, v17, v25
	v_sub_f32_e32 v17, v25, v17
	v_add_f32_e32 v19, v21, v19
	ds_write2_b32 v14, v23, v16 offset1:13
	ds_write2_b32 v14, v24, v26 offset0:26 offset1:39
	ds_write2_b32 v14, v17, v19 offset0:52 offset1:65
	ds_write_b32 v14, v1 offset:312
.LBB0_25:
	s_or_b64 exec, exec, s[2:3]
	s_waitcnt lgkmcnt(0)
	s_barrier
	s_and_saveexec_b64 s[0:1], vcc
	s_cbranch_execz .LBB0_27
; %bb.26:
	v_mul_u32_u24_e32 v1, 10, v97
	v_lshlrev_b32_e32 v1, 3, v1
	global_load_dwordx4 v[14:17], v1, s[4:5] offset:624
	global_load_dwordx4 v[24:27], v1, s[4:5] offset:688
	;; [unrolled: 1-line block ×5, first 2 shown]
	ds_read2_b32 v[18:19], v22 offset0:91 offset1:182
	v_add_u32_e32 v41, 0xc00, v22
	ds_read_b32 v1, v20
	v_add_u32_e32 v43, 0x400, v22
	v_add_u32_e32 v45, 0x800, v22
	;; [unrolled: 1-line block ×3, first 2 shown]
	ds_read2_b32 v[48:49], v41 offset0:51 offset1:142
	ds_read2_b32 v[50:51], v43 offset0:17 offset1:108
	ds_read2_b32 v[52:53], v45 offset0:125 offset1:216
	ds_read2_b32 v[54:55], v47 offset0:71 offset1:162
	v_mad_u64_u32 v[20:21], s[0:1], s8, v96, 0
	v_mov_b32_e32 v56, v21
	v_mov_b32_e32 v40, v13
	v_mad_u64_u32 v[56:57], s[0:1], s9, v96, v[56:57]
	s_waitcnt lgkmcnt(3)
	v_mov_b32_e32 v58, v49
	v_lshl_add_u64 v[22:23], v[2:3], 3, s[10:11]
	v_mov_b32_e32 v21, v56
	v_mov_b32_e32 v56, v19
	s_waitcnt lgkmcnt(1)
	v_mov_b32_e32 v60, v53
	v_mov_b32_e32 v42, v9
	;; [unrolled: 1-line block ×4, first 2 shown]
	s_waitcnt lgkmcnt(0)
	v_mov_b32_e32 v64, v55
	v_mov_b32_e32 v2, v11
	;; [unrolled: 1-line block ×3, first 2 shown]
	v_lshl_add_u64 v[20:21], v[20:21], 3, v[22:23]
	s_mov_b32 s16, 0x3f575c64
	s_mov_b32 s17, 0xbf0a6770
	s_mov_b32 s12, s17
	s_mov_b32 s13, s16
	s_mov_b32 s3, 0xbf68dda4
	s_mov_b32 s2, 0x3ed4b147
	s_mov_b32 s22, s3
	s_mov_b32 s23, s2
	s_mov_b32 s4, 0xbe11bafb
	s_mov_b32 s5, 0xbf7d64f0
	s_mov_b32 s10, 0xbf27a4f4
	s_mov_b32 s11, 0xbf4178ce
	s_mov_b32 s6, s11
	s_mov_b32 s7, s10
	s_mov_b32 s14, 0xbf75a155
	s_mov_b32 s15, 0xbe903f40
	s_mov_b32 s29, 0x3e903f40
	s_mov_b32 s28, s14
	s_mov_b32 s30, s29
	s_mov_b32 s31, s14
	s_mov_b32 s27, 0x3f7d64f0
	s_mov_b32 s26, s4
	s_mov_b32 s24, s27
	s_mov_b32 s25, s4
	s_mov_b32 s21, 0x3f0a6770
	s_mov_b32 s20, s16
	s_mov_b32 s18, s21
	s_mov_b32 s19, s16
	s_waitcnt vmcnt(4)
	v_mul_f32_e32 v66, v12, v14
	v_mul_f32_e32 v3, v12, v15
	s_waitcnt vmcnt(3)
	v_pk_mul_f32 v[12:13], v[58:59], v[26:27] op_sel_hi:[0,1]
	v_pk_mul_f32 v[48:49], v[48:49], v[24:25] op_sel_hi:[0,1]
	v_mov_b32_e32 v58, v17
	v_mov_b32_e32 v59, v16
	v_pk_mul_f32 v[16:17], v[40:41], v[16:17] op_sel_hi:[0,1]
	s_waitcnt vmcnt(2)
	v_pk_mul_f32 v[40:41], v[60:61], v[30:31] op_sel_hi:[0,1]
	s_waitcnt vmcnt(1)
	v_pk_mul_f32 v[50:51], v[50:51], v[32:33] op_sel_hi:[0,1]
	v_pk_mul_f32 v[52:53], v[52:53], v[28:29] op_sel_hi:[0,1]
	v_fmac_f32_e32 v66, v18, v15
	v_fma_f32 v67, v18, v14, -v3
	v_pk_fma_f32 v[68:69], v[10:11], v[24:25], v[48:49] op_sel:[0,0,1] op_sel_hi:[0,1,0]
	v_pk_fma_f32 v[24:25], v[10:11], v[24:25], v[48:49] op_sel:[0,0,1] op_sel_hi:[0,1,0] neg_lo:[1,0,0] neg_hi:[1,0,0]
	v_pk_fma_f32 v[48:49], v[56:57], v[58:59], v[16:17] op_sel_hi:[0,1,1]
	v_pk_fma_f32 v[56:57], v[56:57], v[58:59], v[16:17] op_sel_hi:[0,1,1] neg_lo:[0,0,1] neg_hi:[0,0,1]
	v_pk_mul_f32 v[60:61], v[62:63], v[34:35] op_sel_hi:[0,1]
	v_pk_fma_f32 v[58:59], v[42:43], v[30:31], v[40:41] op_sel:[0,0,1] op_sel_hi:[0,1,0]
	v_pk_fma_f32 v[42:43], v[42:43], v[30:31], v[40:41] op_sel:[0,0,1] op_sel_hi:[0,1,0] neg_lo:[1,0,0] neg_hi:[1,0,0]
	v_pk_fma_f32 v[40:41], v[6:7], v[32:33], v[50:51] op_sel:[0,0,1] op_sel_hi:[0,1,0]
	v_pk_fma_f32 v[50:51], v[6:7], v[32:33], v[50:51] op_sel:[0,0,1] op_sel_hi:[0,1,0] neg_lo:[1,0,0] neg_hi:[1,0,0]
	;; [unrolled: 2-line block ×3, first 2 shown]
	v_mov_b32_e32 v6, v48
	v_mov_b32_e32 v7, v57
	v_pk_add_f32 v[28:29], v[0:1], v[66:67]
	s_waitcnt vmcnt(0)
	v_pk_mul_f32 v[62:63], v[64:65], v[38:39] op_sel_hi:[0,1]
	v_pk_mul_f32 v[54:55], v[54:55], v[36:37] op_sel_hi:[0,1]
	v_pk_fma_f32 v[72:73], v[44:45], v[34:35], v[60:61] op_sel:[0,0,1] op_sel_hi:[0,1,0]
	v_pk_fma_f32 v[60:61], v[44:45], v[34:35], v[60:61] op_sel:[0,0,1] op_sel_hi:[0,1,0] neg_lo:[1,0,0] neg_hi:[1,0,0]
	v_mov_b32_e32 v10, v40
	v_mov_b32_e32 v11, v51
	v_pk_add_f32 v[6:7], v[28:29], v[6:7]
	v_pk_fma_f32 v[74:75], v[46:47], v[38:39], v[62:63] op_sel:[0,0,1] op_sel_hi:[0,1,0]
	v_pk_fma_f32 v[62:63], v[46:47], v[38:39], v[62:63] op_sel:[0,0,1] op_sel_hi:[0,1,0] neg_lo:[1,0,0] neg_hi:[1,0,0]
	v_pk_fma_f32 v[46:47], v[4:5], v[36:37], v[54:55] op_sel:[0,0,1] op_sel_hi:[0,1,0]
	v_pk_fma_f32 v[54:55], v[4:5], v[36:37], v[54:55] op_sel:[0,0,1] op_sel_hi:[0,1,0] neg_lo:[1,0,0] neg_hi:[1,0,0]
	v_mov_b32_e32 v14, v72
	v_mov_b32_e32 v15, v61
	v_pk_add_f32 v[6:7], v[6:7], v[10:11]
	v_pk_fma_f32 v[18:19], v[2:3], v[26:27], v[12:13] op_sel:[0,0,1] op_sel_hi:[0,1,0]
	v_pk_fma_f32 v[64:65], v[2:3], v[26:27], v[12:13] op_sel:[0,0,1] op_sel_hi:[0,1,0] neg_lo:[1,0,0] neg_hi:[1,0,0]
	v_mov_b32_e32 v26, v46
	v_mov_b32_e32 v27, v55
	v_pk_add_f32 v[6:7], v[6:7], v[14:15]
	v_mov_b32_e32 v16, v74
	v_mov_b32_e32 v17, v63
	v_pk_add_f32 v[6:7], v[6:7], v[26:27]
	;; [unrolled: 3-line block ×6, first 2 shown]
	v_add_u32_e32 v7, 0x222, v96
	v_pk_add_f32 v[2:3], v[2:3], v[4:5]
	v_add_u32_e32 v5, 0x5b, v96
	global_store_dwordx2 v[20:21], v[2:3], off
	v_mad_u64_u32 v[2:3], s[0:1], s8, v5, 0
	v_mov_b32_e32 v4, v3
	v_mad_u64_u32 v[4:5], s[0:1], s9, v5, v[4:5]
	v_mov_b32_e32 v3, v4
	v_add_u32_e32 v5, 0xb6, v96
	v_lshl_add_u64 v[76:77], v[2:3], 3, v[22:23]
	v_mad_u64_u32 v[2:3], s[0:1], s8, v5, 0
	v_mov_b32_e32 v4, v3
	v_mad_u64_u32 v[4:5], s[0:1], s9, v5, v[4:5]
	v_mov_b32_e32 v3, v4
	v_add_u32_e32 v5, 0x111, v96
	v_lshl_add_u64 v[78:79], v[2:3], 3, v[22:23]
	;; [unrolled: 6-line block ×4, first 2 shown]
	v_mad_u64_u32 v[2:3], s[0:1], s8, v5, 0
	v_mov_b32_e32 v4, v3
	v_mad_u64_u32 v[4:5], s[0:1], s9, v5, v[4:5]
	v_mov_b32_e32 v3, v4
	;; [unrolled: 2-line block ×3, first 2 shown]
	v_mad_u64_u32 v[6:7], s[0:1], s9, v7, v[6:7]
	v_add_u32_e32 v9, 0x27d, v96
	v_mov_b32_e32 v5, v6
	v_mad_u64_u32 v[6:7], s[0:1], s8, v9, 0
	v_mov_b32_e32 v8, v7
	v_mad_u64_u32 v[8:9], s[0:1], s9, v9, v[8:9]
	v_add_u32_e32 v11, 0x2d8, v96
	v_mov_b32_e32 v7, v8
	v_mad_u64_u32 v[8:9], s[0:1], s8, v11, 0
	v_mov_b32_e32 v10, v9
	;; [unrolled: 5-line block ×4, first 2 shown]
	v_mad_u64_u32 v[16:17], s[0:1], s9, v17, v[16:17]
	v_mov_b32_e32 v13, v16
	v_pk_add_f32 v[26:27], v[66:67], v[18:19]
	v_pk_add_f32 v[16:17], v[66:67], v[18:19] neg_lo:[0,1] neg_hi:[0,1]
	v_mov_b32_e32 v18, v67
	v_mov_b32_e32 v27, v16
	;; [unrolled: 1-line block ×3, first 2 shown]
	v_pk_add_f32 v[32:33], v[16:17], v[64:65] op_sel:[0,1] neg_lo:[0,1] neg_hi:[0,1]
	v_pk_add_f32 v[16:17], v[18:19], v[64:65] op_sel_hi:[0,1]
	v_pk_add_f32 v[30:31], v[48:49], v[68:69]
	v_pk_add_f32 v[18:19], v[48:49], v[68:69] neg_lo:[0,1] neg_hi:[0,1]
	v_lshl_add_u64 v[2:3], v[2:3], 3, v[22:23]
	v_lshl_add_u64 v[4:5], v[4:5], 3, v[22:23]
	;; [unrolled: 1-line block ×6, first 2 shown]
	v_mov_b32_e32 v16, v32
	v_mov_b32_e32 v31, v18
	v_pk_add_f32 v[36:37], v[56:57], v[24:25] neg_lo:[0,1] neg_hi:[0,1]
	v_pk_add_f32 v[18:19], v[56:57], v[24:25]
	v_pk_add_f32 v[34:35], v[40:41], v[58:59]
	v_pk_add_f32 v[20:21], v[40:41], v[58:59] neg_lo:[0,1] neg_hi:[0,1]
	v_pk_add_f32 v[38:39], v[72:73], v[70:71]
	v_pk_add_f32 v[22:23], v[72:73], v[70:71] neg_lo:[0,1] neg_hi:[0,1]
	v_pk_mul_f32 v[48:49], v[26:27], s[16:17]
	v_mov_b32_e32 v18, v37
	v_mov_b32_e32 v35, v20
	v_pk_add_f32 v[40:41], v[50:51], v[42:43] neg_lo:[0,1] neg_hi:[0,1]
	v_pk_add_f32 v[20:21], v[50:51], v[42:43]
	v_mov_b32_e32 v39, v22
	v_pk_add_f32 v[44:45], v[60:61], v[52:53] neg_lo:[0,1] neg_hi:[0,1]
	v_pk_add_f32 v[22:23], v[60:61], v[52:53]
	v_pk_add_f32 v[42:43], v[46:47], v[74:75]
	v_pk_add_f32 v[24:25], v[46:47], v[74:75] neg_lo:[0,1] neg_hi:[0,1]
	v_pk_mul_f32 v[50:51], v[30:31], s[2:3]
	v_pk_fma_f32 v[58:59], v[32:33], s[12:13], v[48:49] neg_lo:[1,0,0] neg_hi:[1,0,0]
	v_pk_fma_f32 v[60:61], v[16:17], s[12:13], v[48:49]
	v_mov_b32_e32 v43, v24
	v_pk_add_f32 v[46:47], v[54:55], v[62:63] neg_lo:[0,1] neg_hi:[0,1]
	v_pk_add_f32 v[24:25], v[54:55], v[62:63]
	v_mov_b32_e32 v59, v61
	v_pk_fma_f32 v[62:63], v[36:37], s[22:23], v[50:51] op_sel:[1,0,0] neg_lo:[1,0,0] neg_hi:[1,0,0]
	v_pk_fma_f32 v[64:65], v[18:19], s[22:23], v[50:51]
	v_mov_b32_e32 v20, v41
	v_pk_mul_f32 v[52:53], v[34:35], s[4:5]
	s_mov_b32 s0, s5
	s_mov_b32 s1, s4
	v_pk_add_f32 v[58:59], v[0:1], v[58:59]
	v_mov_b32_e32 v63, v65
	v_pk_add_f32 v[58:59], v[58:59], v[62:63]
	v_pk_fma_f32 v[62:63], v[40:41], s[0:1], v[52:53] op_sel:[1,0,0] neg_lo:[1,0,0] neg_hi:[1,0,0]
	v_pk_fma_f32 v[66:67], v[20:21], s[0:1], v[52:53]
	v_pk_fma_f32 v[48:49], v[16:17], s[12:13], v[48:49] neg_lo:[0,0,1] neg_hi:[0,0,1]
	v_mov_b32_e32 v22, v45
	v_pk_mul_f32 v[54:55], v[38:39], s[10:11]
	v_mov_b32_e32 v63, v67
	v_mov_b32_e32 v61, v49
	v_pk_fma_f32 v[50:51], v[18:19], s[22:23], v[50:51] neg_lo:[0,0,1] neg_hi:[0,0,1]
	v_pk_add_f32 v[58:59], v[58:59], v[62:63]
	v_pk_fma_f32 v[62:63], v[44:45], s[6:7], v[54:55] op_sel:[1,0,0] neg_lo:[1,0,0] neg_hi:[1,0,0]
	v_pk_fma_f32 v[68:69], v[22:23], s[6:7], v[54:55]
	v_pk_add_f32 v[48:49], v[0:1], v[60:61]
	v_mov_b32_e32 v65, v51
	v_pk_fma_f32 v[50:51], v[20:21], s[0:1], v[52:53] neg_lo:[0,0,1] neg_hi:[0,0,1]
	v_mov_b32_e32 v24, v47
	v_pk_mul_f32 v[56:57], v[42:43], s[14:15]
	s_mov_b32 s8, s15
	s_mov_b32 s9, s14
	v_mov_b32_e32 v63, v69
	v_pk_add_f32 v[48:49], v[48:49], v[64:65]
	v_mov_b32_e32 v67, v51
	v_pk_fma_f32 v[50:51], v[22:23], s[6:7], v[54:55] neg_lo:[0,0,1] neg_hi:[0,0,1]
	v_pk_add_f32 v[58:59], v[58:59], v[62:63]
	v_pk_fma_f32 v[62:63], v[46:47], s[8:9], v[56:57] op_sel:[1,0,0] neg_lo:[1,0,0] neg_hi:[1,0,0]
	v_pk_fma_f32 v[70:71], v[24:25], s[8:9], v[56:57]
	v_pk_add_f32 v[48:49], v[48:49], v[66:67]
	v_mov_b32_e32 v69, v51
	v_pk_fma_f32 v[50:51], v[24:25], s[8:9], v[56:57] neg_lo:[0,0,1] neg_hi:[0,0,1]
	v_mov_b32_e32 v63, v71
	v_pk_add_f32 v[48:49], v[48:49], v[68:69]
	v_mov_b32_e32 v71, v51
	v_pk_add_f32 v[48:49], v[48:49], v[70:71]
	global_store_dwordx2 v[76:77], v[48:49], off
	v_pk_mul_f32 v[48:49], v[26:27], s[2:3]
	v_pk_mul_f32 v[54:55], v[30:31], s[10:11]
	v_pk_fma_f32 v[50:51], v[32:33], s[22:23], v[48:49] neg_lo:[1,0,0] neg_hi:[1,0,0]
	v_pk_fma_f32 v[52:53], v[16:17], s[22:23], v[48:49]
	v_pk_fma_f32 v[56:57], v[36:37], s[6:7], v[54:55] op_sel:[1,0,0] neg_lo:[1,0,0] neg_hi:[1,0,0]
	v_mov_b32_e32 v51, v53
	v_pk_fma_f32 v[60:61], v[18:19], s[6:7], v[54:55]
	v_pk_add_f32 v[50:51], v[0:1], v[50:51]
	v_mov_b32_e32 v57, v61
	v_pk_add_f32 v[50:51], v[50:51], v[56:57]
	v_pk_mul_f32 v[56:57], v[34:35], s[28:29]
	v_pk_add_f32 v[58:59], v[58:59], v[62:63]
	v_pk_fma_f32 v[62:63], v[40:41], s[30:31], v[56:57] op_sel:[1,0,0] neg_lo:[1,0,0] neg_hi:[1,0,0]
	v_pk_fma_f32 v[64:65], v[20:21], s[30:31], v[56:57]
	v_pk_fma_f32 v[48:49], v[16:17], s[22:23], v[48:49] neg_lo:[0,0,1] neg_hi:[0,0,1]
	v_mov_b32_e32 v63, v65
	v_pk_add_f32 v[50:51], v[50:51], v[62:63]
	v_pk_mul_f32 v[62:63], v[38:39], s[26:27]
	v_mov_b32_e32 v53, v49
	v_pk_fma_f32 v[66:67], v[44:45], s[24:25], v[62:63] op_sel:[1,0,0] neg_lo:[1,0,0] neg_hi:[1,0,0]
	v_pk_fma_f32 v[68:69], v[22:23], s[24:25], v[62:63]
	v_pk_add_f32 v[48:49], v[0:1], v[52:53]
	v_pk_fma_f32 v[52:53], v[18:19], s[6:7], v[54:55] neg_lo:[0,0,1] neg_hi:[0,0,1]
	v_mov_b32_e32 v67, v69
	v_mov_b32_e32 v61, v53
	v_pk_fma_f32 v[52:53], v[20:21], s[30:31], v[56:57] neg_lo:[0,0,1] neg_hi:[0,0,1]
	v_pk_add_f32 v[50:51], v[50:51], v[66:67]
	v_pk_mul_f32 v[66:67], v[42:43], s[20:21]
	v_pk_add_f32 v[48:49], v[48:49], v[60:61]
	v_mov_b32_e32 v65, v53
	v_pk_fma_f32 v[52:53], v[22:23], s[24:25], v[62:63] neg_lo:[0,0,1] neg_hi:[0,0,1]
	v_pk_fma_f32 v[70:71], v[46:47], s[18:19], v[66:67] op_sel:[1,0,0] neg_lo:[1,0,0] neg_hi:[1,0,0]
	v_pk_fma_f32 v[72:73], v[24:25], s[18:19], v[66:67]
	v_pk_add_f32 v[48:49], v[48:49], v[64:65]
	v_mov_b32_e32 v69, v53
	v_pk_fma_f32 v[52:53], v[24:25], s[18:19], v[66:67] neg_lo:[0,0,1] neg_hi:[0,0,1]
	v_mov_b32_e32 v71, v73
	v_pk_add_f32 v[48:49], v[48:49], v[68:69]
	v_mov_b32_e32 v73, v53
	v_pk_add_f32 v[48:49], v[48:49], v[72:73]
	global_store_dwordx2 v[78:79], v[48:49], off
	v_pk_mul_f32 v[48:49], v[26:27], s[4:5]
	v_pk_mul_f32 v[56:57], v[30:31], s[28:29]
	v_pk_fma_f32 v[52:53], v[32:33], s[0:1], v[48:49] neg_lo:[1,0,0] neg_hi:[1,0,0]
	v_pk_fma_f32 v[54:55], v[16:17], s[0:1], v[48:49]
	v_pk_fma_f32 v[60:61], v[36:37], s[30:31], v[56:57] op_sel:[1,0,0] neg_lo:[1,0,0] neg_hi:[1,0,0]
	v_mov_b32_e32 v53, v55
	v_pk_fma_f32 v[62:63], v[18:19], s[30:31], v[56:57]
	v_pk_add_f32 v[52:53], v[0:1], v[52:53]
	v_mov_b32_e32 v61, v63
	s_mov_b32 s3, 0x3f68dda4
	v_pk_add_f32 v[52:53], v[52:53], v[60:61]
	v_pk_mul_f32 v[60:61], v[34:35], s[2:3]
	s_mov_b32 s22, s3
	v_pk_fma_f32 v[64:65], v[40:41], s[22:23], v[60:61] op_sel:[1,0,0] neg_lo:[1,0,0] neg_hi:[1,0,0]
	v_pk_fma_f32 v[66:67], v[20:21], s[22:23], v[60:61]
	v_pk_fma_f32 v[48:49], v[16:17], s[0:1], v[48:49] neg_lo:[0,0,1] neg_hi:[0,0,1]
	v_mov_b32_e32 v65, v67
	v_pk_add_f32 v[52:53], v[52:53], v[64:65]
	v_pk_mul_f32 v[64:65], v[38:39], s[16:17]
	v_mov_b32_e32 v55, v49
	v_pk_add_f32 v[50:51], v[50:51], v[70:71]
	v_pk_fma_f32 v[68:69], v[44:45], s[12:13], v[64:65] op_sel:[1,0,0] neg_lo:[1,0,0] neg_hi:[1,0,0]
	v_pk_fma_f32 v[70:71], v[22:23], s[12:13], v[64:65]
	v_pk_add_f32 v[48:49], v[0:1], v[54:55]
	v_pk_fma_f32 v[54:55], v[18:19], s[30:31], v[56:57] neg_lo:[0,0,1] neg_hi:[0,0,1]
	v_mov_b32_e32 v69, v71
	v_mov_b32_e32 v63, v55
	v_pk_fma_f32 v[54:55], v[20:21], s[22:23], v[60:61] neg_lo:[0,0,1] neg_hi:[0,0,1]
	v_pk_add_f32 v[52:53], v[52:53], v[68:69]
	v_pk_mul_f32 v[68:69], v[42:43], s[10:11]
	v_pk_add_f32 v[48:49], v[48:49], v[62:63]
	v_mov_b32_e32 v67, v55
	v_pk_fma_f32 v[54:55], v[22:23], s[12:13], v[64:65] neg_lo:[0,0,1] neg_hi:[0,0,1]
	v_pk_fma_f32 v[72:73], v[46:47], s[6:7], v[68:69] op_sel:[1,0,0] neg_lo:[1,0,0] neg_hi:[1,0,0]
	v_pk_fma_f32 v[74:75], v[24:25], s[6:7], v[68:69]
	v_pk_add_f32 v[48:49], v[48:49], v[66:67]
	v_mov_b32_e32 v71, v55
	v_pk_fma_f32 v[54:55], v[24:25], s[6:7], v[68:69] neg_lo:[0,0,1] neg_hi:[0,0,1]
	v_mov_b32_e32 v73, v75
	v_pk_add_f32 v[48:49], v[48:49], v[70:71]
	v_mov_b32_e32 v75, v55
	v_pk_add_f32 v[48:49], v[48:49], v[74:75]
	global_store_dwordx2 v[28:29], v[48:49], off
	v_pk_mul_f32 v[28:29], v[26:27], s[10:11]
	v_pk_mul_f32 v[56:57], v[30:31], s[26:27]
	v_pk_fma_f32 v[48:49], v[32:33], s[6:7], v[28:29] neg_lo:[1,0,0] neg_hi:[1,0,0]
	v_pk_fma_f32 v[54:55], v[16:17], s[6:7], v[28:29]
	v_pk_fma_f32 v[60:61], v[36:37], s[24:25], v[56:57] op_sel:[1,0,0] neg_lo:[1,0,0] neg_hi:[1,0,0]
	v_mov_b32_e32 v49, v55
	v_pk_fma_f32 v[62:63], v[18:19], s[24:25], v[56:57]
	v_pk_add_f32 v[48:49], v[0:1], v[48:49]
	v_mov_b32_e32 v61, v63
	v_pk_add_f32 v[48:49], v[48:49], v[60:61]
	v_pk_mul_f32 v[60:61], v[34:35], s[16:17]
	v_pk_fma_f32 v[28:29], v[16:17], s[6:7], v[28:29] neg_lo:[0,0,1] neg_hi:[0,0,1]
	v_pk_fma_f32 v[64:65], v[40:41], s[12:13], v[60:61] op_sel:[1,0,0] neg_lo:[1,0,0] neg_hi:[1,0,0]
	v_pk_fma_f32 v[66:67], v[20:21], s[12:13], v[60:61]
	v_mov_b32_e32 v55, v29
	v_mov_b32_e32 v65, v67
	v_pk_add_f32 v[48:49], v[48:49], v[64:65]
	v_pk_mul_f32 v[64:65], v[38:39], s[14:15]
	v_pk_add_f32 v[28:29], v[0:1], v[54:55]
	v_pk_fma_f32 v[68:69], v[44:45], s[8:9], v[64:65] op_sel:[1,0,0] neg_lo:[1,0,0] neg_hi:[1,0,0]
	v_pk_fma_f32 v[70:71], v[22:23], s[8:9], v[64:65]
	v_pk_fma_f32 v[54:55], v[18:19], s[24:25], v[56:57] neg_lo:[0,0,1] neg_hi:[0,0,1]
	v_mov_b32_e32 v69, v71
	v_mov_b32_e32 v63, v55
	v_pk_fma_f32 v[54:55], v[20:21], s[12:13], v[60:61] neg_lo:[0,0,1] neg_hi:[0,0,1]
	v_pk_add_f32 v[48:49], v[48:49], v[68:69]
	v_pk_mul_f32 v[68:69], v[42:43], s[2:3]
	v_pk_add_f32 v[28:29], v[28:29], v[62:63]
	v_mov_b32_e32 v67, v55
	v_pk_fma_f32 v[54:55], v[22:23], s[8:9], v[64:65] neg_lo:[0,0,1] neg_hi:[0,0,1]
	v_pk_add_f32 v[52:53], v[52:53], v[72:73]
	v_pk_fma_f32 v[72:73], v[46:47], s[22:23], v[68:69] op_sel:[1,0,0] neg_lo:[1,0,0] neg_hi:[1,0,0]
	v_pk_fma_f32 v[74:75], v[24:25], s[22:23], v[68:69]
	v_pk_add_f32 v[28:29], v[28:29], v[66:67]
	v_mov_b32_e32 v71, v55
	v_pk_fma_f32 v[54:55], v[24:25], s[22:23], v[68:69] neg_lo:[0,0,1] neg_hi:[0,0,1]
	v_mov_b32_e32 v73, v75
	v_pk_add_f32 v[28:29], v[28:29], v[70:71]
	v_mov_b32_e32 v75, v55
	v_pk_add_f32 v[28:29], v[28:29], v[74:75]
	global_store_dwordx2 v[14:15], v[28:29], off
	v_pk_mul_f32 v[14:15], v[26:27], s[14:15]
	v_pk_mul_f32 v[30:31], v[30:31], s[20:21]
	v_pk_fma_f32 v[26:27], v[32:33], s[8:9], v[14:15] neg_lo:[1,0,0] neg_hi:[1,0,0]
	v_pk_fma_f32 v[28:29], v[16:17], s[8:9], v[14:15]
	v_pk_fma_f32 v[32:33], v[36:37], s[18:19], v[30:31] op_sel:[1,0,0] neg_lo:[1,0,0] neg_hi:[1,0,0]
	v_mov_b32_e32 v27, v29
	v_pk_fma_f32 v[36:37], v[18:19], s[18:19], v[30:31]
	v_pk_add_f32 v[26:27], v[0:1], v[26:27]
	v_mov_b32_e32 v33, v37
	v_pk_add_f32 v[26:27], v[26:27], v[32:33]
	v_pk_mul_f32 v[32:33], v[34:35], s[10:11]
	v_pk_fma_f32 v[14:15], v[16:17], s[8:9], v[14:15] neg_lo:[0,0,1] neg_hi:[0,0,1]
	v_pk_fma_f32 v[34:35], v[40:41], s[6:7], v[32:33] op_sel:[1,0,0] neg_lo:[1,0,0] neg_hi:[1,0,0]
	v_pk_fma_f32 v[40:41], v[20:21], s[6:7], v[32:33]
	v_mov_b32_e32 v29, v15
	v_mov_b32_e32 v35, v41
	v_pk_add_f32 v[26:27], v[26:27], v[34:35]
	v_pk_mul_f32 v[34:35], v[38:39], s[2:3]
	v_pk_fma_f32 v[14:15], v[18:19], s[18:19], v[30:31] neg_lo:[0,0,1] neg_hi:[0,0,1]
	v_pk_fma_f32 v[38:39], v[44:45], s[22:23], v[34:35] op_sel:[1,0,0] neg_lo:[1,0,0] neg_hi:[1,0,0]
	v_pk_fma_f32 v[44:45], v[22:23], s[22:23], v[34:35]
	v_pk_add_f32 v[0:1], v[0:1], v[28:29]
	v_mov_b32_e32 v39, v45
	v_mov_b32_e32 v37, v15
	v_pk_fma_f32 v[14:15], v[20:21], s[6:7], v[32:33] neg_lo:[0,0,1] neg_hi:[0,0,1]
	v_pk_add_f32 v[26:27], v[26:27], v[38:39]
	v_pk_mul_f32 v[38:39], v[42:43], s[4:5]
	v_pk_add_f32 v[0:1], v[0:1], v[36:37]
	v_mov_b32_e32 v41, v15
	v_pk_fma_f32 v[14:15], v[22:23], s[22:23], v[34:35] neg_lo:[0,0,1] neg_hi:[0,0,1]
	v_pk_fma_f32 v[42:43], v[46:47], s[0:1], v[38:39] op_sel:[1,0,0] neg_lo:[1,0,0] neg_hi:[1,0,0]
	v_pk_fma_f32 v[46:47], v[24:25], s[0:1], v[38:39]
	v_pk_add_f32 v[0:1], v[0:1], v[40:41]
	v_mov_b32_e32 v45, v15
	v_pk_fma_f32 v[14:15], v[24:25], s[0:1], v[38:39] neg_lo:[0,0,1] neg_hi:[0,0,1]
	v_mov_b32_e32 v43, v47
	v_pk_add_f32 v[0:1], v[0:1], v[44:45]
	v_mov_b32_e32 v47, v15
	v_pk_add_f32 v[0:1], v[0:1], v[46:47]
	v_pk_add_f32 v[48:49], v[48:49], v[72:73]
	;; [unrolled: 1-line block ×3, first 2 shown]
	global_store_dwordx2 v[2:3], v[0:1], off
	global_store_dwordx2 v[4:5], v[26:27], off
	global_store_dwordx2 v[6:7], v[48:49], off
	global_store_dwordx2 v[8:9], v[52:53], off
	global_store_dwordx2 v[10:11], v[50:51], off
	global_store_dwordx2 v[12:13], v[58:59], off
.LBB0_27:
	s_endpgm
	.section	.rodata,"a",@progbits
	.p2align	6, 0x0
	.amdhsa_kernel fft_rtc_back_len1001_factors_13_7_11_wgs_182_tpt_91_halfLds_sp_ip_CI_sbrr_dirReg
		.amdhsa_group_segment_fixed_size 0
		.amdhsa_private_segment_fixed_size 0
		.amdhsa_kernarg_size 88
		.amdhsa_user_sgpr_count 2
		.amdhsa_user_sgpr_dispatch_ptr 0
		.amdhsa_user_sgpr_queue_ptr 0
		.amdhsa_user_sgpr_kernarg_segment_ptr 1
		.amdhsa_user_sgpr_dispatch_id 0
		.amdhsa_user_sgpr_kernarg_preload_length 0
		.amdhsa_user_sgpr_kernarg_preload_offset 0
		.amdhsa_user_sgpr_private_segment_size 0
		.amdhsa_uses_dynamic_stack 0
		.amdhsa_enable_private_segment 0
		.amdhsa_system_sgpr_workgroup_id_x 1
		.amdhsa_system_sgpr_workgroup_id_y 0
		.amdhsa_system_sgpr_workgroup_id_z 0
		.amdhsa_system_sgpr_workgroup_info 0
		.amdhsa_system_vgpr_workitem_id 0
		.amdhsa_next_free_vgpr 122
		.amdhsa_next_free_sgpr 50
		.amdhsa_accum_offset 124
		.amdhsa_reserve_vcc 1
		.amdhsa_float_round_mode_32 0
		.amdhsa_float_round_mode_16_64 0
		.amdhsa_float_denorm_mode_32 3
		.amdhsa_float_denorm_mode_16_64 3
		.amdhsa_dx10_clamp 1
		.amdhsa_ieee_mode 1
		.amdhsa_fp16_overflow 0
		.amdhsa_tg_split 0
		.amdhsa_exception_fp_ieee_invalid_op 0
		.amdhsa_exception_fp_denorm_src 0
		.amdhsa_exception_fp_ieee_div_zero 0
		.amdhsa_exception_fp_ieee_overflow 0
		.amdhsa_exception_fp_ieee_underflow 0
		.amdhsa_exception_fp_ieee_inexact 0
		.amdhsa_exception_int_div_zero 0
	.end_amdhsa_kernel
	.text
.Lfunc_end0:
	.size	fft_rtc_back_len1001_factors_13_7_11_wgs_182_tpt_91_halfLds_sp_ip_CI_sbrr_dirReg, .Lfunc_end0-fft_rtc_back_len1001_factors_13_7_11_wgs_182_tpt_91_halfLds_sp_ip_CI_sbrr_dirReg
                                        ; -- End function
	.section	.AMDGPU.csdata,"",@progbits
; Kernel info:
; codeLenInByte = 10088
; NumSgprs: 56
; NumVgprs: 122
; NumAgprs: 0
; TotalNumVgprs: 122
; ScratchSize: 0
; MemoryBound: 0
; FloatMode: 240
; IeeeMode: 1
; LDSByteSize: 0 bytes/workgroup (compile time only)
; SGPRBlocks: 6
; VGPRBlocks: 15
; NumSGPRsForWavesPerEU: 56
; NumVGPRsForWavesPerEU: 122
; AccumOffset: 124
; Occupancy: 4
; WaveLimiterHint : 1
; COMPUTE_PGM_RSRC2:SCRATCH_EN: 0
; COMPUTE_PGM_RSRC2:USER_SGPR: 2
; COMPUTE_PGM_RSRC2:TRAP_HANDLER: 0
; COMPUTE_PGM_RSRC2:TGID_X_EN: 1
; COMPUTE_PGM_RSRC2:TGID_Y_EN: 0
; COMPUTE_PGM_RSRC2:TGID_Z_EN: 0
; COMPUTE_PGM_RSRC2:TIDIG_COMP_CNT: 0
; COMPUTE_PGM_RSRC3_GFX90A:ACCUM_OFFSET: 30
; COMPUTE_PGM_RSRC3_GFX90A:TG_SPLIT: 0
	.text
	.p2alignl 6, 3212836864
	.fill 256, 4, 3212836864
	.type	__hip_cuid_602b73c203a719a1,@object ; @__hip_cuid_602b73c203a719a1
	.section	.bss,"aw",@nobits
	.globl	__hip_cuid_602b73c203a719a1
__hip_cuid_602b73c203a719a1:
	.byte	0                               ; 0x0
	.size	__hip_cuid_602b73c203a719a1, 1

	.ident	"AMD clang version 19.0.0git (https://github.com/RadeonOpenCompute/llvm-project roc-6.4.0 25133 c7fe45cf4b819c5991fe208aaa96edf142730f1d)"
	.section	".note.GNU-stack","",@progbits
	.addrsig
	.addrsig_sym __hip_cuid_602b73c203a719a1
	.amdgpu_metadata
---
amdhsa.kernels:
  - .agpr_count:     0
    .args:
      - .actual_access:  read_only
        .address_space:  global
        .offset:         0
        .size:           8
        .value_kind:     global_buffer
      - .offset:         8
        .size:           8
        .value_kind:     by_value
      - .actual_access:  read_only
        .address_space:  global
        .offset:         16
        .size:           8
        .value_kind:     global_buffer
      - .actual_access:  read_only
        .address_space:  global
        .offset:         24
        .size:           8
        .value_kind:     global_buffer
      - .offset:         32
        .size:           8
        .value_kind:     by_value
      - .actual_access:  read_only
        .address_space:  global
        .offset:         40
        .size:           8
        .value_kind:     global_buffer
      - .actual_access:  read_only
        .address_space:  global
        .offset:         48
        .size:           8
        .value_kind:     global_buffer
      - .offset:         56
        .size:           4
        .value_kind:     by_value
      - .actual_access:  read_only
        .address_space:  global
        .offset:         64
        .size:           8
        .value_kind:     global_buffer
      - .actual_access:  read_only
        .address_space:  global
        .offset:         72
        .size:           8
        .value_kind:     global_buffer
      - .address_space:  global
        .offset:         80
        .size:           8
        .value_kind:     global_buffer
    .group_segment_fixed_size: 0
    .kernarg_segment_align: 8
    .kernarg_segment_size: 88
    .language:       OpenCL C
    .language_version:
      - 2
      - 0
    .max_flat_workgroup_size: 182
    .name:           fft_rtc_back_len1001_factors_13_7_11_wgs_182_tpt_91_halfLds_sp_ip_CI_sbrr_dirReg
    .private_segment_fixed_size: 0
    .sgpr_count:     56
    .sgpr_spill_count: 0
    .symbol:         fft_rtc_back_len1001_factors_13_7_11_wgs_182_tpt_91_halfLds_sp_ip_CI_sbrr_dirReg.kd
    .uniform_work_group_size: 1
    .uses_dynamic_stack: false
    .vgpr_count:     122
    .vgpr_spill_count: 0
    .wavefront_size: 64
amdhsa.target:   amdgcn-amd-amdhsa--gfx950
amdhsa.version:
  - 1
  - 2
...

	.end_amdgpu_metadata
